;; amdgpu-corpus repo=ROCm/rocFFT kind=compiled arch=gfx1201 opt=O3
	.text
	.amdgcn_target "amdgcn-amd-amdhsa--gfx1201"
	.amdhsa_code_object_version 6
	.protected	fft_rtc_fwd_len442_factors_17_2_13_wgs_238_tpt_34_halfLds_dp_op_CI_CI_unitstride_sbrr_dirReg ; -- Begin function fft_rtc_fwd_len442_factors_17_2_13_wgs_238_tpt_34_halfLds_dp_op_CI_CI_unitstride_sbrr_dirReg
	.globl	fft_rtc_fwd_len442_factors_17_2_13_wgs_238_tpt_34_halfLds_dp_op_CI_CI_unitstride_sbrr_dirReg
	.p2align	8
	.type	fft_rtc_fwd_len442_factors_17_2_13_wgs_238_tpt_34_halfLds_dp_op_CI_CI_unitstride_sbrr_dirReg,@function
fft_rtc_fwd_len442_factors_17_2_13_wgs_238_tpt_34_halfLds_dp_op_CI_CI_unitstride_sbrr_dirReg: ; @fft_rtc_fwd_len442_factors_17_2_13_wgs_238_tpt_34_halfLds_dp_op_CI_CI_unitstride_sbrr_dirReg
; %bb.0:
	s_load_b128 s[8:11], s[0:1], 0x0
	v_mul_u32_u24_e32 v1, 0x788, v0
	s_clause 0x1
	s_load_b128 s[4:7], s[0:1], 0x58
	s_load_b128 s[12:15], s[0:1], 0x18
	v_mov_b32_e32 v12, 0
	v_lshrrev_b32_e32 v2, 16, v1
	v_mov_b32_e32 v1, 0
	s_delay_alu instid0(VALU_DEP_2) | instskip(NEXT) | instid1(VALU_DEP_2)
	v_mad_co_u64_u32 v[72:73], null, ttmp9, 7, v[2:3]
	v_mov_b32_e32 v73, v1
	v_mov_b32_e32 v13, 0
	s_delay_alu instid0(VALU_DEP_2) | instskip(SKIP_2) | instid1(VALU_DEP_3)
	v_dual_mov_b32 v99, v73 :: v_dual_mov_b32 v98, v72
	s_wait_kmcnt 0x0
	v_cmp_lt_u64_e64 s2, s[10:11], 2
	v_dual_mov_b32 v97, v13 :: v_dual_mov_b32 v96, v12
	s_delay_alu instid0(VALU_DEP_2)
	s_and_b32 vcc_lo, exec_lo, s2
	s_cbranch_vccnz .LBB0_8
; %bb.1:
	s_load_b64 s[2:3], s[0:1], 0x10
	v_dual_mov_b32 v12, 0 :: v_dual_mov_b32 v3, v72
	v_dual_mov_b32 v13, 0 :: v_dual_mov_b32 v4, v73
	s_add_nc_u64 s[16:17], s[14:15], 8
	s_add_nc_u64 s[18:19], s[12:13], 8
	s_mov_b64 s[20:21], 1
	s_delay_alu instid0(VALU_DEP_1)
	v_dual_mov_b32 v97, v13 :: v_dual_mov_b32 v96, v12
	s_wait_kmcnt 0x0
	s_add_nc_u64 s[22:23], s[2:3], 8
	s_mov_b32 s3, 0
.LBB0_2:                                ; =>This Inner Loop Header: Depth=1
	s_load_b64 s[24:25], s[22:23], 0x0
                                        ; implicit-def: $vgpr98_vgpr99
	s_mov_b32 s2, exec_lo
	s_wait_kmcnt 0x0
	v_or_b32_e32 v2, s25, v4
	s_delay_alu instid0(VALU_DEP_1)
	v_cmpx_ne_u64_e32 0, v[1:2]
	s_wait_alu 0xfffe
	s_xor_b32 s26, exec_lo, s2
	s_cbranch_execz .LBB0_4
; %bb.3:                                ;   in Loop: Header=BB0_2 Depth=1
	s_cvt_f32_u32 s2, s24
	s_cvt_f32_u32 s27, s25
	s_sub_nc_u64 s[30:31], 0, s[24:25]
	s_wait_alu 0xfffe
	s_delay_alu instid0(SALU_CYCLE_1) | instskip(SKIP_1) | instid1(SALU_CYCLE_2)
	s_fmamk_f32 s2, s27, 0x4f800000, s2
	s_wait_alu 0xfffe
	v_s_rcp_f32 s2, s2
	s_delay_alu instid0(TRANS32_DEP_1) | instskip(SKIP_1) | instid1(SALU_CYCLE_2)
	s_mul_f32 s2, s2, 0x5f7ffffc
	s_wait_alu 0xfffe
	s_mul_f32 s27, s2, 0x2f800000
	s_wait_alu 0xfffe
	s_delay_alu instid0(SALU_CYCLE_2) | instskip(SKIP_1) | instid1(SALU_CYCLE_2)
	s_trunc_f32 s27, s27
	s_wait_alu 0xfffe
	s_fmamk_f32 s2, s27, 0xcf800000, s2
	s_cvt_u32_f32 s29, s27
	s_wait_alu 0xfffe
	s_delay_alu instid0(SALU_CYCLE_1) | instskip(SKIP_1) | instid1(SALU_CYCLE_2)
	s_cvt_u32_f32 s28, s2
	s_wait_alu 0xfffe
	s_mul_u64 s[34:35], s[30:31], s[28:29]
	s_wait_alu 0xfffe
	s_mul_hi_u32 s37, s28, s35
	s_mul_i32 s36, s28, s35
	s_mul_hi_u32 s2, s28, s34
	s_mul_i32 s33, s29, s34
	s_wait_alu 0xfffe
	s_add_nc_u64 s[36:37], s[2:3], s[36:37]
	s_mul_hi_u32 s27, s29, s34
	s_mul_hi_u32 s38, s29, s35
	s_add_co_u32 s2, s36, s33
	s_wait_alu 0xfffe
	s_add_co_ci_u32 s2, s37, s27
	s_mul_i32 s34, s29, s35
	s_add_co_ci_u32 s35, s38, 0
	s_wait_alu 0xfffe
	s_add_nc_u64 s[34:35], s[2:3], s[34:35]
	s_wait_alu 0xfffe
	v_add_co_u32 v2, s2, s28, s34
	s_delay_alu instid0(VALU_DEP_1) | instskip(SKIP_1) | instid1(VALU_DEP_1)
	s_cmp_lg_u32 s2, 0
	s_add_co_ci_u32 s29, s29, s35
	v_readfirstlane_b32 s28, v2
	s_wait_alu 0xfffe
	s_delay_alu instid0(VALU_DEP_1)
	s_mul_u64 s[30:31], s[30:31], s[28:29]
	s_wait_alu 0xfffe
	s_mul_hi_u32 s35, s28, s31
	s_mul_i32 s34, s28, s31
	s_mul_hi_u32 s2, s28, s30
	s_mul_i32 s33, s29, s30
	s_wait_alu 0xfffe
	s_add_nc_u64 s[34:35], s[2:3], s[34:35]
	s_mul_hi_u32 s27, s29, s30
	s_mul_hi_u32 s28, s29, s31
	s_wait_alu 0xfffe
	s_add_co_u32 s2, s34, s33
	s_add_co_ci_u32 s2, s35, s27
	s_mul_i32 s30, s29, s31
	s_add_co_ci_u32 s31, s28, 0
	s_wait_alu 0xfffe
	s_add_nc_u64 s[30:31], s[2:3], s[30:31]
	s_wait_alu 0xfffe
	v_add_co_u32 v2, s2, v2, s30
	s_delay_alu instid0(VALU_DEP_1) | instskip(SKIP_1) | instid1(VALU_DEP_1)
	s_cmp_lg_u32 s2, 0
	s_add_co_ci_u32 s2, s29, s31
	v_mul_hi_u32 v11, v3, v2
	s_wait_alu 0xfffe
	v_mad_co_u64_u32 v[5:6], null, v3, s2, 0
	v_mad_co_u64_u32 v[7:8], null, v4, v2, 0
	;; [unrolled: 1-line block ×3, first 2 shown]
	s_delay_alu instid0(VALU_DEP_3) | instskip(SKIP_1) | instid1(VALU_DEP_4)
	v_add_co_u32 v2, vcc_lo, v11, v5
	s_wait_alu 0xfffd
	v_add_co_ci_u32_e32 v5, vcc_lo, 0, v6, vcc_lo
	s_delay_alu instid0(VALU_DEP_2) | instskip(SKIP_1) | instid1(VALU_DEP_2)
	v_add_co_u32 v2, vcc_lo, v2, v7
	s_wait_alu 0xfffd
	v_add_co_ci_u32_e32 v2, vcc_lo, v5, v8, vcc_lo
	s_wait_alu 0xfffd
	v_add_co_ci_u32_e32 v5, vcc_lo, 0, v10, vcc_lo
	s_delay_alu instid0(VALU_DEP_2) | instskip(SKIP_1) | instid1(VALU_DEP_2)
	v_add_co_u32 v2, vcc_lo, v2, v9
	s_wait_alu 0xfffd
	v_add_co_ci_u32_e32 v7, vcc_lo, 0, v5, vcc_lo
	s_delay_alu instid0(VALU_DEP_2) | instskip(SKIP_1) | instid1(VALU_DEP_3)
	v_mul_lo_u32 v8, s25, v2
	v_mad_co_u64_u32 v[5:6], null, s24, v2, 0
	v_mul_lo_u32 v9, s24, v7
	s_delay_alu instid0(VALU_DEP_2) | instskip(NEXT) | instid1(VALU_DEP_2)
	v_sub_co_u32 v5, vcc_lo, v3, v5
	v_add3_u32 v6, v6, v9, v8
	s_delay_alu instid0(VALU_DEP_1) | instskip(SKIP_1) | instid1(VALU_DEP_1)
	v_sub_nc_u32_e32 v8, v4, v6
	s_wait_alu 0xfffd
	v_subrev_co_ci_u32_e64 v8, s2, s25, v8, vcc_lo
	v_add_co_u32 v9, s2, v2, 2
	s_wait_alu 0xf1ff
	v_add_co_ci_u32_e64 v10, s2, 0, v7, s2
	v_sub_co_u32 v11, s2, v5, s24
	v_sub_co_ci_u32_e32 v6, vcc_lo, v4, v6, vcc_lo
	s_wait_alu 0xf1ff
	v_subrev_co_ci_u32_e64 v8, s2, 0, v8, s2
	s_delay_alu instid0(VALU_DEP_3) | instskip(NEXT) | instid1(VALU_DEP_3)
	v_cmp_le_u32_e32 vcc_lo, s24, v11
	v_cmp_eq_u32_e64 s2, s25, v6
	s_wait_alu 0xfffd
	v_cndmask_b32_e64 v11, 0, -1, vcc_lo
	v_cmp_le_u32_e32 vcc_lo, s25, v8
	s_wait_alu 0xfffd
	v_cndmask_b32_e64 v14, 0, -1, vcc_lo
	v_cmp_le_u32_e32 vcc_lo, s24, v5
	;; [unrolled: 3-line block ×3, first 2 shown]
	s_wait_alu 0xfffd
	v_cndmask_b32_e64 v15, 0, -1, vcc_lo
	v_cmp_eq_u32_e32 vcc_lo, s25, v8
	s_wait_alu 0xf1ff
	s_delay_alu instid0(VALU_DEP_2)
	v_cndmask_b32_e64 v5, v15, v5, s2
	s_wait_alu 0xfffd
	v_cndmask_b32_e32 v8, v14, v11, vcc_lo
	v_add_co_u32 v11, vcc_lo, v2, 1
	s_wait_alu 0xfffd
	v_add_co_ci_u32_e32 v14, vcc_lo, 0, v7, vcc_lo
	s_delay_alu instid0(VALU_DEP_3) | instskip(SKIP_1) | instid1(VALU_DEP_2)
	v_cmp_ne_u32_e32 vcc_lo, 0, v8
	s_wait_alu 0xfffd
	v_cndmask_b32_e32 v6, v14, v10, vcc_lo
	v_cndmask_b32_e32 v8, v11, v9, vcc_lo
	v_cmp_ne_u32_e32 vcc_lo, 0, v5
	s_wait_alu 0xfffd
	s_delay_alu instid0(VALU_DEP_2)
	v_dual_cndmask_b32 v99, v7, v6 :: v_dual_cndmask_b32 v98, v2, v8
.LBB0_4:                                ;   in Loop: Header=BB0_2 Depth=1
	s_wait_alu 0xfffe
	s_and_not1_saveexec_b32 s2, s26
	s_cbranch_execz .LBB0_6
; %bb.5:                                ;   in Loop: Header=BB0_2 Depth=1
	v_cvt_f32_u32_e32 v2, s24
	s_sub_co_i32 s26, 0, s24
	v_mov_b32_e32 v99, v1
	s_delay_alu instid0(VALU_DEP_2) | instskip(NEXT) | instid1(TRANS32_DEP_1)
	v_rcp_iflag_f32_e32 v2, v2
	v_mul_f32_e32 v2, 0x4f7ffffe, v2
	s_delay_alu instid0(VALU_DEP_1) | instskip(SKIP_1) | instid1(VALU_DEP_1)
	v_cvt_u32_f32_e32 v2, v2
	s_wait_alu 0xfffe
	v_mul_lo_u32 v5, s26, v2
	s_delay_alu instid0(VALU_DEP_1) | instskip(NEXT) | instid1(VALU_DEP_1)
	v_mul_hi_u32 v5, v2, v5
	v_add_nc_u32_e32 v2, v2, v5
	s_delay_alu instid0(VALU_DEP_1) | instskip(NEXT) | instid1(VALU_DEP_1)
	v_mul_hi_u32 v2, v3, v2
	v_mul_lo_u32 v5, v2, s24
	v_add_nc_u32_e32 v6, 1, v2
	s_delay_alu instid0(VALU_DEP_2) | instskip(NEXT) | instid1(VALU_DEP_1)
	v_sub_nc_u32_e32 v5, v3, v5
	v_subrev_nc_u32_e32 v7, s24, v5
	v_cmp_le_u32_e32 vcc_lo, s24, v5
	s_wait_alu 0xfffd
	s_delay_alu instid0(VALU_DEP_2) | instskip(NEXT) | instid1(VALU_DEP_1)
	v_dual_cndmask_b32 v5, v5, v7 :: v_dual_cndmask_b32 v2, v2, v6
	v_cmp_le_u32_e32 vcc_lo, s24, v5
	s_delay_alu instid0(VALU_DEP_2) | instskip(SKIP_1) | instid1(VALU_DEP_1)
	v_add_nc_u32_e32 v6, 1, v2
	s_wait_alu 0xfffd
	v_cndmask_b32_e32 v98, v2, v6, vcc_lo
.LBB0_6:                                ;   in Loop: Header=BB0_2 Depth=1
	s_wait_alu 0xfffe
	s_or_b32 exec_lo, exec_lo, s2
	v_mul_lo_u32 v2, v99, s24
	s_delay_alu instid0(VALU_DEP_2)
	v_mul_lo_u32 v7, v98, s25
	s_load_b64 s[26:27], s[18:19], 0x0
	v_mad_co_u64_u32 v[5:6], null, v98, s24, 0
	s_load_b64 s[24:25], s[16:17], 0x0
	s_add_nc_u64 s[20:21], s[20:21], 1
	s_add_nc_u64 s[16:17], s[16:17], 8
	s_wait_alu 0xfffe
	v_cmp_ge_u64_e64 s2, s[20:21], s[10:11]
	s_add_nc_u64 s[18:19], s[18:19], 8
	s_add_nc_u64 s[22:23], s[22:23], 8
	v_add3_u32 v2, v6, v7, v2
	v_sub_co_u32 v3, vcc_lo, v3, v5
	s_wait_alu 0xfffd
	s_delay_alu instid0(VALU_DEP_2) | instskip(SKIP_2) | instid1(VALU_DEP_1)
	v_sub_co_ci_u32_e32 v2, vcc_lo, v4, v2, vcc_lo
	s_and_b32 vcc_lo, exec_lo, s2
	s_wait_kmcnt 0x0
	v_mul_lo_u32 v4, s26, v2
	v_mul_lo_u32 v5, s27, v3
	v_mad_co_u64_u32 v[12:13], null, s26, v3, v[12:13]
	v_mul_lo_u32 v2, s24, v2
	v_mul_lo_u32 v6, s25, v3
	v_mad_co_u64_u32 v[96:97], null, s24, v3, v[96:97]
	s_delay_alu instid0(VALU_DEP_4) | instskip(NEXT) | instid1(VALU_DEP_2)
	v_add3_u32 v13, v5, v13, v4
	v_add3_u32 v97, v6, v97, v2
	s_wait_alu 0xfffe
	s_cbranch_vccnz .LBB0_8
; %bb.7:                                ;   in Loop: Header=BB0_2 Depth=1
	v_dual_mov_b32 v3, v98 :: v_dual_mov_b32 v4, v99
	s_branch .LBB0_2
.LBB0_8:
	s_load_b64 s[0:1], s[0:1], 0x28
	s_lshl_b64 s[10:11], s[10:11], 3
	v_mul_hi_u32 v1, 0x7878788, v0
	s_wait_alu 0xfffe
	s_add_nc_u64 s[2:3], s[14:15], s[10:11]
	v_mov_b32_e32 v100, 0
	s_load_b64 s[2:3], s[2:3], 0x0
                                        ; implicit-def: $vgpr2_vgpr3
                                        ; implicit-def: $vgpr6_vgpr7
                                        ; implicit-def: $vgpr10_vgpr11
                                        ; implicit-def: $vgpr18_vgpr19
                                        ; implicit-def: $vgpr22_vgpr23
                                        ; implicit-def: $vgpr26_vgpr27
                                        ; implicit-def: $vgpr34_vgpr35
                                        ; implicit-def: $vgpr38_vgpr39
                                        ; implicit-def: $vgpr42_vgpr43
                                        ; implicit-def: $vgpr54_vgpr55
                                        ; implicit-def: $vgpr70_vgpr71
                                        ; implicit-def: $vgpr66_vgpr67
                                        ; implicit-def: $vgpr62_vgpr63
                                        ; implicit-def: $vgpr58_vgpr59
                                        ; implicit-def: $vgpr50_vgpr51
                                        ; implicit-def: $vgpr46_vgpr47
                                        ; implicit-def: $vgpr30_vgpr31
	s_delay_alu instid0(VALU_DEP_2) | instskip(NEXT) | instid1(VALU_DEP_1)
	v_mul_u32_u24_e32 v1, 34, v1
	v_sub_nc_u32_e32 v101, v0, v1
	s_wait_kmcnt 0x0
	v_cmp_gt_u64_e32 vcc_lo, s[0:1], v[98:99]
	s_and_saveexec_b32 s1, vcc_lo
	s_cbranch_execz .LBB0_12
; %bb.9:
	s_mov_b32 s14, exec_lo
                                        ; implicit-def: $vgpr28_vgpr29
                                        ; implicit-def: $vgpr44_vgpr45
                                        ; implicit-def: $vgpr48_vgpr49
                                        ; implicit-def: $vgpr56_vgpr57
                                        ; implicit-def: $vgpr60_vgpr61
                                        ; implicit-def: $vgpr64_vgpr65
                                        ; implicit-def: $vgpr68_vgpr69
                                        ; implicit-def: $vgpr52_vgpr53
                                        ; implicit-def: $vgpr40_vgpr41
                                        ; implicit-def: $vgpr36_vgpr37
                                        ; implicit-def: $vgpr32_vgpr33
                                        ; implicit-def: $vgpr24_vgpr25
                                        ; implicit-def: $vgpr20_vgpr21
                                        ; implicit-def: $vgpr16_vgpr17
                                        ; implicit-def: $vgpr8_vgpr9
                                        ; implicit-def: $vgpr4_vgpr5
                                        ; implicit-def: $vgpr0_vgpr1
	v_cmpx_gt_u32_e32 26, v101
	s_cbranch_execz .LBB0_11
; %bb.10:
	s_add_nc_u64 s[10:11], s[12:13], s[10:11]
	v_mov_b32_e32 v102, 0
	s_load_b64 s[10:11], s[10:11], 0x0
	s_wait_kmcnt 0x0
	v_mul_lo_u32 v2, s11, v98
	v_mul_lo_u32 v3, s10, v99
	v_mad_co_u64_u32 v[0:1], null, s10, v98, 0
	s_delay_alu instid0(VALU_DEP_1) | instskip(SKIP_1) | instid1(VALU_DEP_2)
	v_add3_u32 v1, v1, v3, v2
	v_lshlrev_b64_e32 v[2:3], 4, v[12:13]
	v_lshlrev_b64_e32 v[0:1], 4, v[0:1]
	s_delay_alu instid0(VALU_DEP_1) | instskip(SKIP_1) | instid1(VALU_DEP_2)
	v_add_co_u32 v4, s0, s4, v0
	s_wait_alu 0xf1ff
	v_add_co_ci_u32_e64 v5, s0, s5, v1, s0
	v_lshlrev_b64_e32 v[0:1], 4, v[101:102]
	s_delay_alu instid0(VALU_DEP_3) | instskip(SKIP_1) | instid1(VALU_DEP_3)
	v_add_co_u32 v2, s0, v4, v2
	s_wait_alu 0xf1ff
	v_add_co_ci_u32_e64 v3, s0, v5, v3, s0
	s_delay_alu instid0(VALU_DEP_2) | instskip(SKIP_1) | instid1(VALU_DEP_2)
	v_add_co_u32 v0, s0, v2, v0
	s_wait_alu 0xf1ff
	v_add_co_ci_u32_e64 v1, s0, v3, v1, s0
	s_clause 0x10
	global_load_b128 v[28:31], v[0:1], off
	global_load_b128 v[44:47], v[0:1], off offset:416
	global_load_b128 v[48:51], v[0:1], off offset:832
	;; [unrolled: 1-line block ×16, first 2 shown]
.LBB0_11:
	s_or_b32 exec_lo, exec_lo, s14
	v_mov_b32_e32 v100, v101
.LBB0_12:
	s_wait_alu 0xfffe
	s_or_b32 exec_lo, exec_lo, s1
	s_wait_loadcnt 0x0
	v_add_f64_e32 v[79:80], v[0:1], v[44:45]
	s_mov_b32 s4, 0x3259b75e
	s_mov_b32 s12, 0xc61f0d01
	;; [unrolled: 1-line block ×4, first 2 shown]
	v_add_f64_e64 v[102:103], v[46:47], -v[2:3]
	v_add_f64_e32 v[83:84], v[4:5], v[48:49]
	s_mov_b32 s26, 0xeb564b22
	s_mov_b32 s10, 0x7faef3
	;; [unrolled: 1-line block ×8, first 2 shown]
	v_add_f64_e64 v[126:127], v[50:51], -v[6:7]
	v_add_f64_e32 v[91:92], v[8:9], v[56:57]
	s_mov_b32 s20, 0xacd6c6b4
	s_mov_b32 s34, 0x4363dd80
	s_mov_b32 s22, 0x75d4884
	s_mov_b32 s21, 0xbfc7851a
	s_mov_b32 s35, 0x3fe0d888
	s_mov_b32 s23, 0x3fe7a5f6
	v_add_f64_e64 v[140:141], v[58:59], -v[10:11]
	v_add_f64_e32 v[89:90], v[16:17], v[60:61]
	s_mov_b32 s28, 0x2a9d6da3
	s_mov_b32 s18, 0x370991
	;; [unrolled: 1-line block ×8, first 2 shown]
	v_add_f64_e64 v[142:143], v[62:63], -v[18:19]
	v_add_f64_e32 v[87:88], v[20:21], v[64:65]
	s_mov_b32 s30, 0x5d8e7cdc
	s_mov_b32 s46, 0x7c9e640b
	;; [unrolled: 1-line block ×3, first 2 shown]
	s_wait_alu 0xfffe
	v_mul_f64_e32 v[118:119], s[4:5], v[79:80]
	v_mul_f64_e32 v[120:121], s[12:13], v[79:80]
	s_mov_b32 s47, 0xbfeca52d
	v_add_f64_e64 v[138:139], v[66:67], -v[22:23]
	v_add_f64_e32 v[77:78], v[24:25], v[68:69]
	v_add_f64_e64 v[122:123], v[70:71], -v[26:27]
	v_mul_f64_e32 v[132:133], s[10:11], v[83:84]
	v_mul_f64_e32 v[136:137], s[14:15], v[83:84]
	s_mov_b32 s42, 0x6ed5f1bb
	s_mov_b32 s39, 0xbfe0d888
	;; [unrolled: 1-line block ×6, first 2 shown]
	v_add_f64_e64 v[116:117], v[54:55], -v[34:35]
	s_mov_b32 s48, 0x6c9a05f6
	v_mul_f64_e32 v[130:131], s[12:13], v[91:92]
	v_mul_f64_e32 v[134:135], s[22:23], v[91:92]
	s_mov_b32 s49, 0x3fe9895b
	s_mov_b32 s51, 0xbfd71e95
	;; [unrolled: 1-line block ×3, first 2 shown]
	v_add_f64_e64 v[108:109], v[42:43], -v[38:39]
	s_mov_b32 s45, 0xbfe9895b
	s_mov_b32 s44, s48
	v_mul_f64_e32 v[124:125], s[18:19], v[89:90]
	v_mul_f64_e32 v[128:129], s[24:25], v[89:90]
	v_mul_hi_u32 v95, 0x24924925, v72
	v_cmp_gt_u32_e64 s1, 26, v101
	v_mul_f64_e32 v[112:113], s[24:25], v[87:88]
	v_mul_f64_e32 v[114:115], s[10:11], v[87:88]
	v_fma_f64 v[12:13], v[102:103], s[26:27], v[118:119]
	v_fma_f64 v[14:15], v[102:103], s[16:17], v[120:121]
	v_mul_f64_e32 v[106:107], s[14:15], v[77:78]
	v_mul_f64_e32 v[110:111], s[4:5], v[77:78]
	v_fma_f64 v[73:74], v[126:127], s[20:21], v[132:133]
	v_fma_f64 v[75:76], v[126:127], s[34:35], v[136:137]
	;; [unrolled: 1-line block ×5, first 2 shown]
	v_add_f64_e32 v[12:13], v[28:29], v[12:13]
	v_add_f64_e32 v[14:15], v[28:29], v[14:15]
	v_fma_f64 v[144:145], v[122:123], s[38:39], v[106:107]
	v_fma_f64 v[146:147], v[122:123], s[40:41], v[110:111]
	s_delay_alu instid0(VALU_DEP_4) | instskip(NEXT) | instid1(VALU_DEP_4)
	v_add_f64_e32 v[12:13], v[73:74], v[12:13]
	v_add_f64_e32 v[14:15], v[75:76], v[14:15]
	v_fma_f64 v[75:76], v[142:143], s[30:31], v[124:125]
	v_add_f64_e32 v[73:74], v[32:33], v[52:53]
	s_delay_alu instid0(VALU_DEP_4) | instskip(NEXT) | instid1(VALU_DEP_4)
	v_add_f64_e32 v[12:13], v[81:82], v[12:13]
	v_add_f64_e32 v[14:15], v[85:86], v[14:15]
	v_fma_f64 v[81:82], v[138:139], s[46:47], v[112:113]
	v_fma_f64 v[85:86], v[138:139], s[20:21], v[114:115]
	v_mul_f64_e32 v[104:105], s[18:19], v[73:74]
	v_add_f64_e32 v[12:13], v[75:76], v[12:13]
	v_add_f64_e32 v[14:15], v[93:94], v[14:15]
	;; [unrolled: 1-line block ×3, first 2 shown]
	v_mul_f64_e32 v[93:94], s[42:43], v[73:74]
	v_fma_f64 v[150:151], v[116:117], s[50:51], v[104:105]
	v_add_f64_e32 v[12:13], v[81:82], v[12:13]
	v_add_f64_e32 v[14:15], v[85:86], v[14:15]
	v_mul_f64_e32 v[81:82], s[22:23], v[75:76]
	v_mul_f64_e32 v[85:86], s[42:43], v[75:76]
	v_fma_f64 v[148:149], v[116:117], s[48:49], v[93:94]
	v_add_f64_e32 v[12:13], v[144:145], v[12:13]
	v_add_f64_e32 v[14:15], v[146:147], v[14:15]
	v_fma_f64 v[144:145], v[108:109], s[28:29], v[81:82]
	v_fma_f64 v[146:147], v[108:109], s[44:45], v[85:86]
	s_delay_alu instid0(VALU_DEP_4) | instskip(NEXT) | instid1(VALU_DEP_4)
	v_add_f64_e32 v[12:13], v[148:149], v[12:13]
	v_add_f64_e32 v[148:149], v[150:151], v[14:15]
	v_sub_nc_u32_e32 v150, v72, v95
	s_delay_alu instid0(VALU_DEP_3) | instskip(NEXT) | instid1(VALU_DEP_3)
	v_add_f64_e32 v[14:15], v[144:145], v[12:13]
	v_add_f64_e32 v[12:13], v[146:147], v[148:149]
	s_delay_alu instid0(VALU_DEP_3) | instskip(NEXT) | instid1(VALU_DEP_1)
	v_lshrrev_b32_e32 v144, 1, v150
	v_add_nc_u32_e32 v95, v144, v95
	s_delay_alu instid0(VALU_DEP_1) | instskip(NEXT) | instid1(VALU_DEP_1)
	v_lshrrev_b32_e32 v95, 2, v95
	v_mul_lo_u32 v95, v95, 7
	s_delay_alu instid0(VALU_DEP_1) | instskip(NEXT) | instid1(VALU_DEP_1)
	v_sub_nc_u32_e32 v72, v72, v95
	v_mul_u32_u24_e32 v72, 0x1ba, v72
	s_delay_alu instid0(VALU_DEP_1)
	v_lshlrev_b32_e32 v144, 3, v72
	s_and_saveexec_b32 s0, s1
	s_cbranch_execz .LBB0_14
; %bb.13:
	v_add_f64_e32 v[145:146], v[44:45], v[28:29]
	v_mul_f64_e32 v[153:154], s[16:17], v[102:103]
	v_mul_f64_e32 v[155:156], s[26:27], v[102:103]
	;; [unrolled: 1-line block ×5, first 2 shown]
	s_mov_b32 s55, 0xbfe58eea
	s_mov_b32 s54, s28
	v_mul_f64_e32 v[157:158], s[46:47], v[102:103]
	v_mul_f64_e32 v[159:160], s[50:51], v[102:103]
	;; [unrolled: 1-line block ×3, first 2 shown]
	s_mov_b32 s53, 0x3feca52d
	s_mov_b32 s52, s46
	v_mul_f64_e32 v[161:162], s[34:35], v[126:127]
	v_mul_f64_e32 v[163:164], s[20:21], v[126:127]
	;; [unrolled: 1-line block ×8, first 2 shown]
	s_mov_b32 s57, 0x3fc7851a
	s_mov_b32 s56, s20
	v_mul_f64_e32 v[175:176], s[28:29], v[140:141]
	v_mul_f64_e32 v[185:186], s[38:39], v[140:141]
	;; [unrolled: 1-line block ×11, first 2 shown]
	v_add_f64_e32 v[145:146], v[48:49], v[145:146]
	v_add_f64_e64 v[120:121], v[120:121], -v[153:154]
	v_add_f64_e64 v[118:119], v[118:119], -v[155:156]
	v_fma_f64 v[177:178], v[79:80], s[10:11], v[147:148]
	v_fma_f64 v[147:148], v[79:80], s[10:11], -v[147:148]
	v_fma_f64 v[179:180], v[79:80], s[14:15], v[149:150]
	v_fma_f64 v[149:150], v[79:80], s[14:15], -v[149:150]
	;; [unrolled: 2-line block ×4, first 2 shown]
	v_fma_f64 v[157:158], v[79:80], s[18:19], -v[159:160]
	v_fma_f64 v[183:184], v[79:80], s[22:23], v[102:103]
	v_fma_f64 v[102:103], v[79:80], s[22:23], -v[102:103]
	v_fma_f64 v[79:80], v[79:80], s[18:19], v[159:160]
	v_mul_f64_e32 v[159:160], s[36:37], v[140:141]
	v_add_f64_e64 v[136:137], v[136:137], -v[161:162]
	v_add_f64_e64 v[132:133], v[132:133], -v[163:164]
	v_mul_f64_e32 v[140:141], s[56:57], v[140:141]
	v_fma_f64 v[161:162], v[83:84], s[18:19], v[165:166]
	v_fma_f64 v[163:164], v[83:84], s[18:19], -v[165:166]
	v_fma_f64 v[165:166], v[83:84], s[12:13], v[167:168]
	v_fma_f64 v[167:168], v[83:84], s[12:13], -v[167:168]
	;; [unrolled: 2-line block ×6, first 2 shown]
	v_add_f64_e64 v[134:135], v[134:135], -v[175:176]
	v_fma_f64 v[175:176], v[91:92], s[14:15], -v[185:186]
	v_fma_f64 v[213:214], v[91:92], s[18:19], v[189:190]
	v_fma_f64 v[189:190], v[91:92], s[18:19], -v[189:190]
	v_fma_f64 v[215:216], v[91:92], s[42:43], v[191:192]
	;; [unrolled: 2-line block ×3, first 2 shown]
	v_add_f64_e32 v[145:146], v[56:57], v[145:146]
	v_add_f64_e32 v[120:121], v[28:29], v[120:121]
	;; [unrolled: 1-line block ×15, first 2 shown]
	v_mul_f64_e32 v[79:80], s[46:47], v[142:143]
	v_mul_f64_e32 v[183:184], s[30:31], v[142:143]
	v_add_f64_e64 v[130:131], v[130:131], -v[159:160]
	v_mul_f64_e32 v[142:143], s[26:27], v[142:143]
	v_fma_f64 v[159:160], v[91:92], s[14:15], v[185:186]
	v_fma_f64 v[185:186], v[91:92], s[4:5], v[187:188]
	v_fma_f64 v[187:188], v[91:92], s[4:5], -v[187:188]
	v_fma_f64 v[193:194], v[91:92], s[24:25], -v[193:194]
	v_fma_f64 v[219:220], v[91:92], s[10:11], v[140:141]
	v_fma_f64 v[91:92], v[91:92], s[10:11], -v[140:141]
	v_add_f64_e32 v[145:146], v[60:61], v[145:146]
	v_add_f64_e32 v[120:121], v[136:137], v[120:121]
	;; [unrolled: 1-line block ×15, first 2 shown]
	v_mul_f64_e32 v[155:156], s[20:21], v[138:139]
	v_mul_f64_e32 v[163:164], s[46:47], v[138:139]
	v_add_f64_e64 v[79:80], v[128:129], -v[79:80]
	v_add_f64_e64 v[124:125], v[124:125], -v[183:184]
	v_mul_f64_e32 v[157:158], s[44:45], v[138:139]
	v_mul_f64_e32 v[165:166], s[50:51], v[138:139]
	v_mul_f64_e32 v[167:168], s[40:41], v[138:139]
	v_mul_f64_e32 v[169:170], s[28:29], v[138:139]
	v_mul_f64_e32 v[171:172], s[34:35], v[138:139]
	v_mul_f64_e32 v[138:139], s[16:17], v[138:139]
	v_fma_f64 v[128:129], v[89:90], s[22:23], v[203:204]
	v_fma_f64 v[173:174], v[89:90], s[22:23], -v[203:204]
	v_fma_f64 v[177:178], v[89:90], s[42:43], v[205:206]
	v_fma_f64 v[179:180], v[89:90], s[42:43], -v[205:206]
	;; [unrolled: 2-line block ×6, first 2 shown]
	v_add_f64_e32 v[145:146], v[64:65], v[145:146]
	v_add_f64_e32 v[120:121], v[134:135], v[120:121]
	;; [unrolled: 1-line block ×15, first 2 shown]
	v_mul_f64_e32 v[151:152], s[38:39], v[122:123]
	v_add_f64_e64 v[114:115], v[114:115], -v[155:156]
	v_add_f64_e64 v[112:113], v[112:113], -v[163:164]
	v_mul_f64_e32 v[153:154], s[20:21], v[122:123]
	v_mul_f64_e32 v[159:160], s[50:51], v[122:123]
	v_mul_f64_e32 v[161:162], s[36:37], v[122:123]
	v_mul_f64_e32 v[175:176], s[44:45], v[122:123]
	v_mul_f64_e32 v[185:186], s[52:53], v[122:123]
	v_fma_f64 v[155:156], v[87:88], s[42:43], v[157:158]
	v_fma_f64 v[157:158], v[87:88], s[42:43], -v[157:158]
	v_fma_f64 v[163:164], v[87:88], s[18:19], v[165:166]
	v_fma_f64 v[165:166], v[87:88], s[18:19], -v[165:166]
	v_fma_f64 v[187:188], v[87:88], s[4:5], v[167:168]
	v_fma_f64 v[167:168], v[87:88], s[4:5], -v[167:168]
	v_fma_f64 v[189:190], v[87:88], s[22:23], v[169:170]
	v_fma_f64 v[169:170], v[87:88], s[22:23], -v[169:170]
	v_fma_f64 v[191:192], v[87:88], s[14:15], v[171:172]
	v_fma_f64 v[171:172], v[87:88], s[14:15], -v[171:172]
	v_fma_f64 v[193:194], v[87:88], s[12:13], v[138:139]
	v_fma_f64 v[87:88], v[87:88], s[12:13], -v[138:139]
	v_add_f64_e32 v[145:146], v[68:69], v[145:146]
	v_add_f64_e32 v[79:80], v[79:80], v[120:121]
	;; [unrolled: 1-line block ×15, first 2 shown]
	v_mul_f64_e32 v[132:133], s[50:51], v[116:117]
	v_mul_f64_e32 v[134:135], s[48:49], v[116:117]
	v_add_f64_e64 v[106:107], v[106:107], -v[151:152]
	v_mul_f64_e32 v[147:148], s[28:29], v[116:117]
	v_mul_f64_e32 v[149:150], s[20:21], v[116:117]
	;; [unrolled: 1-line block ×4, first 2 shown]
	v_fma_f64 v[151:152], v[77:78], s[10:11], -v[153:154]
	v_fma_f64 v[179:180], v[77:78], s[12:13], v[161:162]
	v_fma_f64 v[161:162], v[77:78], s[12:13], -v[161:162]
	v_fma_f64 v[181:182], v[77:78], s[42:43], v[175:176]
	;; [unrolled: 2-line block ×3, first 2 shown]
	v_fma_f64 v[185:186], v[77:78], s[24:25], -v[185:186]
	v_add_f64_e32 v[145:146], v[52:53], v[145:146]
	v_add_f64_e32 v[79:80], v[114:115], v[79:80]
	;; [unrolled: 1-line block ×10, first 2 shown]
	v_mul_f64_e32 v[120:121], s[28:29], v[108:109]
	v_add_f64_e64 v[104:105], v[104:105], -v[132:133]
	v_add_f64_e64 v[93:94], v[93:94], -v[134:135]
	v_mul_f64_e32 v[124:125], s[40:41], v[108:109]
	v_fma_f64 v[167:168], v[73:74], s[4:5], v[173:174]
	v_fma_f64 v[169:170], v[73:74], s[4:5], -v[173:174]
	v_fma_f64 v[171:172], v[73:74], s[14:15], v[177:178]
	v_fma_f64 v[173:174], v[73:74], s[14:15], -v[177:178]
	v_add_f64_e32 v[145:146], v[40:41], v[145:146]
	v_add_f64_e32 v[106:107], v[106:107], v[112:113]
	;; [unrolled: 1-line block ×6, first 2 shown]
	v_add_f64_e64 v[81:82], v[81:82], -v[120:121]
	v_fma_f64 v[112:113], v[75:76], s[4:5], v[124:125]
	v_add_f64_e32 v[145:146], v[36:37], v[145:146]
	v_add_f64_e32 v[93:94], v[93:94], v[106:107]
	;; [unrolled: 1-line block ×4, first 2 shown]
	s_delay_alu instid0(VALU_DEP_4) | instskip(NEXT) | instid1(VALU_DEP_1)
	v_add_f64_e32 v[145:146], v[32:33], v[145:146]
	v_add_f64_e32 v[136:137], v[24:25], v[145:146]
	v_mul_f64_e32 v[145:146], s[40:41], v[122:123]
	v_mul_f64_e32 v[122:123], s[54:55], v[122:123]
	s_delay_alu instid0(VALU_DEP_3) | instskip(NEXT) | instid1(VALU_DEP_3)
	v_add_f64_e32 v[130:131], v[20:21], v[136:137]
	v_add_f64_e64 v[110:111], v[110:111], -v[145:146]
	v_mul_f64_e32 v[136:137], s[16:17], v[116:117]
	v_mul_f64_e32 v[116:117], s[52:53], v[116:117]
	v_fma_f64 v[145:146], v[77:78], s[10:11], v[153:154]
	v_fma_f64 v[153:154], v[77:78], s[18:19], v[159:160]
	v_fma_f64 v[159:160], v[77:78], s[18:19], -v[159:160]
	v_fma_f64 v[195:196], v[77:78], s[22:23], v[122:123]
	v_fma_f64 v[77:78], v[77:78], s[22:23], -v[122:123]
	v_add_f64_e32 v[122:123], v[155:156], v[126:127]
	v_add_f64_e32 v[126:127], v[157:158], v[128:129]
	;; [unrolled: 1-line block ×5, first 2 shown]
	v_mul_f64_e32 v[142:143], s[44:45], v[108:109]
	v_mul_f64_e32 v[155:156], s[38:39], v[108:109]
	;; [unrolled: 1-line block ×4, first 2 shown]
	v_fma_f64 v[165:166], v[73:74], s[10:11], v[149:150]
	v_fma_f64 v[149:150], v[73:74], s[10:11], -v[149:150]
	v_add_f64_e32 v[89:90], v[16:17], v[130:131]
	v_add_f64_e32 v[79:80], v[110:111], v[79:80]
	v_mul_f64_e32 v[130:131], s[16:17], v[108:109]
	v_mul_f64_e32 v[108:109], s[52:53], v[108:109]
	v_fma_f64 v[132:133], v[73:74], s[12:13], v[136:137]
	v_fma_f64 v[134:135], v[73:74], s[12:13], -v[136:137]
	v_fma_f64 v[136:137], v[73:74], s[22:23], v[147:148]
	v_fma_f64 v[147:148], v[73:74], s[22:23], -v[147:148]
	;; [unrolled: 2-line block ×3, first 2 shown]
	v_add_f64_e32 v[116:117], v[183:184], v[122:123]
	v_add_f64_e32 v[122:123], v[185:186], v[126:127]
	;; [unrolled: 1-line block ×8, first 2 shown]
	v_add_f64_e64 v[85:86], v[85:86], -v[142:143]
	v_fma_f64 v[114:115], v[75:76], s[4:5], -v[124:125]
	v_fma_f64 v[120:121], v[75:76], s[14:15], v[155:156]
	v_fma_f64 v[140:141], v[75:76], s[18:19], v[157:158]
	v_fma_f64 v[142:143], v[75:76], s[18:19], -v[157:158]
	v_fma_f64 v[145:146], v[75:76], s[10:11], v[163:164]
	v_fma_f64 v[151:152], v[75:76], s[10:11], -v[163:164]
	v_add_f64_e32 v[89:90], v[8:9], v[89:90]
	v_add_f64_e32 v[79:80], v[104:105], v[79:80]
	v_fma_f64 v[118:119], v[75:76], s[12:13], v[130:131]
	v_fma_f64 v[124:125], v[75:76], s[12:13], -v[130:131]
	v_fma_f64 v[130:131], v[75:76], s[14:15], -v[155:156]
	v_fma_f64 v[153:154], v[75:76], s[24:25], v[108:109]
	v_fma_f64 v[74:75], v[75:76], s[24:25], -v[108:109]
	v_add_f64_e32 v[87:88], v[177:178], v[87:88]
	v_add_f64_e32 v[72:73], v[72:73], v[102:103]
	;; [unrolled: 1-line block ×15, first 2 shown]
	v_mul_u32_u24_e32 v84, 0x88, v101
	v_add_f64_e32 v[87:88], v[140:141], v[87:88]
	v_add_f64_e32 v[72:73], v[142:143], v[72:73]
	;; [unrolled: 1-line block ×10, first 2 shown]
	v_add3_u32 v84, 0, v84, v144
	v_add_f64_e32 v[89:90], v[0:1], v[89:90]
	ds_store_2addr_b64 v84, v[80:81], v[78:79] offset0:4 offset1:5
	ds_store_2addr_b64 v84, v[74:75], v[110:111] offset0:6 offset1:7
	;; [unrolled: 1-line block ×6, first 2 shown]
	ds_store_2addr_b64 v84, v[89:90], v[82:83] offset1:1
	ds_store_2addr_b64 v84, v[72:73], v[85:86] offset0:2 offset1:3
	ds_store_b64 v84, v[28:29] offset:128
.LBB0_14:
	s_wait_alu 0xfffe
	s_or_b32 exec_lo, exec_lo, s0
	v_lshlrev_b32_e32 v28, 3, v101
	global_wb scope:SCOPE_SE
	s_wait_dscnt 0x0
	s_barrier_signal -1
	s_barrier_wait -1
	global_inv scope:SCOPE_SE
	v_add_nc_u32_e32 v142, 0, v28
	v_add3_u32 v140, 0, v144, v28
	v_cmp_gt_u32_e64 s0, 17, v101
	s_delay_alu instid0(VALU_DEP_3) | instskip(NEXT) | instid1(VALU_DEP_1)
	v_add_nc_u32_e32 v141, v142, v144
	v_add_nc_u32_e32 v28, 0x400, v141
	;; [unrolled: 1-line block ×3, first 2 shown]
	ds_load_2addr_b64 v[80:83], v141 offset0:170 offset1:221
	ds_load_2addr_b64 v[88:91], v141 offset0:34 offset1:68
	;; [unrolled: 1-line block ×5, first 2 shown]
	ds_load_b64 v[104:105], v140
	ds_load_b64 v[102:103], v141 offset:3128
	s_and_saveexec_b32 s4, s0
	s_cbranch_execz .LBB0_16
; %bb.15:
	v_add_nc_u32_e32 v12, 0x600, v141
	ds_load_2addr_b64 v[12:15], v12 offset0:12 offset1:233
.LBB0_16:
	s_wait_alu 0xfffe
	s_or_b32 exec_lo, exec_lo, s4
	v_add_f64_e64 v[138:139], v[44:45], -v[0:1]
	v_add_f64_e32 v[124:125], v[2:3], v[46:47]
	v_add_f64_e64 v[136:137], v[48:49], -v[4:5]
	s_mov_b32 s4, 0x3259b75e
	s_mov_b32 s10, 0xc61f0d01
	;; [unrolled: 1-line block ×8, first 2 shown]
	v_add_f64_e32 v[116:117], v[6:7], v[50:51]
	v_add_f64_e64 v[130:131], v[56:57], -v[8:9]
	s_mov_b32 s14, 0x7faef3
	s_mov_b32 s12, 0x910ea3b9
	s_mov_b32 s34, 0x2a9d6da3
	s_mov_b32 s15, 0xbfef7484
	s_mov_b32 s13, 0xbfeb34fa
	s_mov_b32 s39, 0x3feec746
	s_mov_b32 s35, 0x3fe58eea
	s_mov_b32 s38, s16
	v_add_f64_e32 v[108:109], v[10:11], v[58:59]
	v_add_f64_e64 v[122:123], v[60:61], -v[16:17]
	s_mov_b32 s20, 0x75d4884
	s_mov_b32 s28, 0x5d8e7cdc
	;; [unrolled: 1-line block ×6, first 2 shown]
	v_add_f64_e32 v[106:107], v[18:19], v[62:63]
	v_add_f64_e64 v[114:115], v[64:65], -v[20:21]
	s_mov_b32 s24, 0x370991
	s_mov_b32 s22, 0x2b2883cd
	;; [unrolled: 1-line block ×4, first 2 shown]
	v_add_f64_e32 v[56:57], v[22:23], v[66:67]
	v_add_f64_e64 v[68:69], v[68:69], -v[24:25]
	s_mov_b32 s37, 0xbfe0d888
	v_mul_f64_e32 v[132:133], s[26:27], v[138:139]
	v_mul_f64_e32 v[134:135], s[16:17], v[138:139]
	s_wait_alu 0xfffe
	v_mul_f64_e32 v[126:127], s[18:19], v[136:137]
	v_mul_f64_e32 v[128:129], s[42:43], v[136:137]
	s_mov_b32 s31, 0x3fefdd0d
	s_mov_b32 s36, s42
	;; [unrolled: 1-line block ×3, first 2 shown]
	v_add_f64_e32 v[44:45], v[26:27], v[70:71]
	v_add_f64_e64 v[52:53], v[52:53], -v[32:33]
	s_mov_b32 s52, 0x6c9a05f6
	s_mov_b32 s53, 0x3fe9895b
	;; [unrolled: 1-line block ×3, first 2 shown]
	v_mul_f64_e32 v[118:119], s[38:39], v[130:131]
	v_mul_f64_e32 v[120:121], s[34:35], v[130:131]
	s_mov_b32 s46, s28
	s_mov_b32 s40, 0x6ed5f1bb
	;; [unrolled: 1-line block ×4, first 2 shown]
	s_wait_alu 0xfffe
	s_mov_b32 s48, s52
	global_wb scope:SCOPE_SE
	s_wait_dscnt 0x0
	s_barrier_signal -1
	s_barrier_wait -1
	v_mul_f64_e32 v[110:111], s[28:29], v[122:123]
	v_mul_f64_e32 v[112:113], s[54:55], v[122:123]
	global_inv scope:SCOPE_SE
	v_mul_f64_e32 v[60:61], s[54:55], v[114:115]
	v_mul_f64_e32 v[64:65], s[18:19], v[114:115]
	;; [unrolled: 1-line block ×4, first 2 shown]
	v_fma_f64 v[0:1], v[124:125], s[4:5], -v[132:133]
	v_fma_f64 v[4:5], v[124:125], s[10:11], -v[134:135]
	;; [unrolled: 1-line block ×4, first 2 shown]
	v_mul_f64_e32 v[24:25], s[46:47], v[52:53]
	v_fma_f64 v[20:21], v[108:109], s[10:11], -v[118:119]
	v_fma_f64 v[28:29], v[108:109], s[20:21], -v[120:121]
	;; [unrolled: 1-line block ×4, first 2 shown]
	v_add_f64_e32 v[0:1], v[30:31], v[0:1]
	v_add_f64_e32 v[4:5], v[30:31], v[4:5]
	s_delay_alu instid0(VALU_DEP_2) | instskip(NEXT) | instid1(VALU_DEP_2)
	v_add_f64_e32 v[0:1], v[8:9], v[0:1]
	v_add_f64_e32 v[4:5], v[16:17], v[4:5]
	v_fma_f64 v[8:9], v[106:107], s[24:25], -v[110:111]
	v_fma_f64 v[16:17], v[106:107], s[22:23], -v[112:113]
	s_delay_alu instid0(VALU_DEP_4) | instskip(NEXT) | instid1(VALU_DEP_4)
	v_add_f64_e32 v[0:1], v[20:21], v[0:1]
	v_add_f64_e32 v[4:5], v[28:29], v[4:5]
	v_add_f64_e64 v[28:29], v[40:41], -v[36:37]
	v_mul_f64_e32 v[20:21], s[52:53], v[52:53]
	v_fma_f64 v[36:37], v[44:45], s[12:13], -v[32:33]
	v_fma_f64 v[40:41], v[44:45], s[4:5], -v[48:49]
	v_add_f64_e32 v[0:1], v[8:9], v[0:1]
	v_add_f64_e32 v[8:9], v[16:17], v[4:5]
	;; [unrolled: 1-line block ×3, first 2 shown]
	s_wait_alu 0xfffe
	v_mul_f64_e32 v[16:17], s[48:49], v[28:29]
	s_delay_alu instid0(VALU_DEP_4) | instskip(NEXT) | instid1(VALU_DEP_4)
	v_add_f64_e32 v[92:93], v[92:93], v[0:1]
	v_add_f64_e32 v[94:95], v[94:95], v[8:9]
	;; [unrolled: 1-line block ×3, first 2 shown]
	v_mul_f64_e32 v[8:9], s[34:35], v[28:29]
	v_fma_f64 v[145:146], v[4:5], s[40:41], -v[20:21]
	v_fma_f64 v[147:148], v[4:5], s[24:25], -v[24:25]
	v_add_f64_e32 v[36:37], v[36:37], v[92:93]
	v_add_f64_e32 v[40:41], v[40:41], v[94:95]
	v_fma_f64 v[149:150], v[0:1], s[40:41], -v[16:17]
	v_fma_f64 v[92:93], v[0:1], s[20:21], -v[8:9]
	s_delay_alu instid0(VALU_DEP_4) | instskip(NEXT) | instid1(VALU_DEP_4)
	v_add_f64_e32 v[36:37], v[145:146], v[36:37]
	v_add_f64_e32 v[40:41], v[147:148], v[40:41]
	s_delay_alu instid0(VALU_DEP_2) | instskip(NEXT) | instid1(VALU_DEP_2)
	v_add_f64_e32 v[94:95], v[92:93], v[36:37]
	v_add_f64_e32 v[92:93], v[149:150], v[40:41]
	s_and_saveexec_b32 s33, s1
	s_cbranch_execz .LBB0_18
; %bb.17:
	v_add_f64_e32 v[36:37], v[46:47], v[30:31]
	v_mul_f64_e32 v[40:41], s[46:47], v[138:139]
	v_mul_f64_e32 v[46:47], s[54:55], v[138:139]
	s_mov_b32 s51, 0xbfe58eea
	s_mov_b32 s50, s34
	;; [unrolled: 1-line block ×4, first 2 shown]
	v_mul_f64_e32 v[147:148], s[14:15], v[116:117]
	v_mul_f64_e32 v[149:150], s[12:13], v[116:117]
	;; [unrolled: 1-line block ×5, first 2 shown]
	s_wait_alu 0xfffe
	v_mul_f64_e32 v[155:156], s[50:51], v[136:137]
	v_mul_f64_e32 v[157:158], s[10:11], v[108:109]
	v_mul_f64_e32 v[169:170], s[46:47], v[130:131]
	v_mul_f64_e32 v[171:172], s[26:27], v[130:131]
	v_mul_f64_e32 v[167:168], s[48:49], v[130:131]
	v_mul_f64_e32 v[173:174], s[36:37], v[130:131]
	v_mul_f64_e32 v[187:188], s[36:37], v[122:123]
	v_mul_f64_e32 v[189:190], s[52:53], v[122:123]
	v_mul_f64_e32 v[183:184], s[18:19], v[122:123]
	v_mul_f64_e32 v[185:186], s[38:39], v[122:123]
	v_add_f64_e32 v[36:37], v[50:51], v[36:37]
	v_mul_f64_e32 v[50:51], s[4:5], v[124:125]
	v_fma_f64 v[159:160], v[124:125], s[24:25], v[40:41]
	v_fma_f64 v[161:162], v[124:125], s[22:23], v[46:47]
	v_fma_f64 v[46:47], v[124:125], s[22:23], -v[46:47]
	v_fma_f64 v[40:41], v[124:125], s[24:25], -v[40:41]
	v_add_f64_e32 v[126:127], v[147:148], v[126:127]
	v_add_f64_e32 v[128:129], v[149:150], v[128:129]
	v_fma_f64 v[177:178], v[116:117], s[40:41], v[145:146]
	v_fma_f64 v[147:148], v[116:117], s[10:11], v[151:152]
	v_fma_f64 v[149:150], v[116:117], s[10:11], -v[151:152]
	v_fma_f64 v[145:146], v[116:117], s[40:41], -v[145:146]
	v_fma_f64 v[151:152], v[116:117], s[24:25], v[153:154]
	v_fma_f64 v[153:154], v[116:117], s[24:25], -v[153:154]
	v_fma_f64 v[179:180], v[116:117], s[20:21], v[155:156]
	v_fma_f64 v[155:156], v[116:117], s[20:21], -v[155:156]
	v_add_f64_e32 v[118:119], v[157:158], v[118:119]
	v_fma_f64 v[157:158], v[108:109], s[24:25], -v[169:170]
	v_fma_f64 v[193:194], v[108:109], s[40:41], v[167:168]
	v_fma_f64 v[167:168], v[108:109], s[40:41], -v[167:168]
	v_fma_f64 v[195:196], v[108:109], s[12:13], v[173:174]
	v_fma_f64 v[173:174], v[108:109], s[12:13], -v[173:174]
	v_add_f64_e32 v[36:37], v[58:59], v[36:37]
	v_mul_f64_e32 v[58:59], s[10:11], v[124:125]
	v_add_f64_e32 v[50:51], v[50:51], v[132:133]
	v_add_f64_e32 v[46:47], v[30:31], v[46:47]
	s_delay_alu instid0(VALU_DEP_4)
	v_add_f64_e32 v[36:37], v[62:63], v[36:37]
	v_mul_f64_e32 v[62:63], s[48:49], v[138:139]
	v_add_f64_e32 v[58:59], v[58:59], v[134:135]
	v_add_f64_e32 v[50:51], v[30:31], v[50:51]
	;; [unrolled: 1-line block ×3, first 2 shown]
	v_mul_f64_e32 v[145:146], s[42:43], v[114:115]
	v_add_f64_e32 v[36:37], v[66:67], v[36:37]
	v_mul_f64_e32 v[66:67], s[36:37], v[138:139]
	v_fma_f64 v[132:133], v[124:125], s[40:41], v[62:63]
	v_fma_f64 v[62:63], v[124:125], s[40:41], -v[62:63]
	v_add_f64_e32 v[58:59], v[30:31], v[58:59]
	v_add_f64_e32 v[50:51], v[126:127], v[50:51]
	;; [unrolled: 1-line block ×3, first 2 shown]
	v_mul_f64_e32 v[70:71], s[18:19], v[138:139]
	v_mul_f64_e32 v[138:139], s[50:51], v[138:139]
	v_fma_f64 v[134:135], v[124:125], s[12:13], v[66:67]
	v_fma_f64 v[66:67], v[124:125], s[12:13], -v[66:67]
	v_add_f64_e32 v[132:133], v[30:31], v[132:133]
	v_add_f64_e32 v[62:63], v[30:31], v[62:63]
	;; [unrolled: 1-line block ×5, first 2 shown]
	v_mul_f64_e32 v[54:55], s[26:27], v[136:137]
	v_mul_f64_e32 v[136:137], s[44:45], v[136:137]
	v_fma_f64 v[163:164], v[124:125], s[14:15], v[70:71]
	v_fma_f64 v[70:71], v[124:125], s[14:15], -v[70:71]
	v_fma_f64 v[165:166], v[124:125], s[20:21], -v[138:139]
	v_add_f64_e32 v[134:135], v[30:31], v[134:135]
	v_add_f64_e32 v[66:67], v[30:31], v[66:67]
	;; [unrolled: 1-line block ×4, first 2 shown]
	v_mul_f64_e32 v[149:150], s[30:31], v[114:115]
	v_mul_f64_e32 v[147:148], s[34:35], v[114:115]
	v_add_f64_e32 v[36:37], v[42:43], v[36:37]
	v_fma_f64 v[42:43], v[124:125], s[20:21], v[138:139]
	v_mul_f64_e32 v[124:125], s[20:21], v[108:109]
	v_mul_f64_e32 v[138:139], s[54:55], v[130:131]
	s_mov_b32 s55, 0x3fc7851a
	s_mov_b32 s54, s18
	v_fma_f64 v[181:182], v[116:117], s[22:23], v[136:137]
	s_wait_alu 0xfffe
	v_mul_f64_e32 v[130:131], s[54:55], v[130:131]
	v_fma_f64 v[175:176], v[116:117], s[4:5], v[54:55]
	v_fma_f64 v[54:55], v[116:117], s[4:5], -v[54:55]
	v_fma_f64 v[116:117], v[116:117], s[22:23], -v[136:137]
	v_add_f64_e32 v[136:137], v[30:31], v[159:160]
	v_add_f64_e32 v[159:160], v[30:31], v[161:162]
	;; [unrolled: 1-line block ×5, first 2 shown]
	v_mul_f64_e32 v[165:166], s[26:27], v[122:123]
	v_mul_f64_e32 v[122:123], s[34:35], v[122:123]
	v_add_f64_e32 v[62:63], v[157:158], v[62:63]
	v_add_f64_e32 v[36:37], v[38:39], v[36:37]
	;; [unrolled: 1-line block ×4, first 2 shown]
	v_mul_f64_e32 v[40:41], s[24:25], v[106:107]
	v_mul_f64_e32 v[42:43], s[22:23], v[106:107]
	v_add_f64_e32 v[120:121], v[124:125], v[120:121]
	v_fma_f64 v[124:125], v[108:109], s[24:25], v[169:170]
	v_fma_f64 v[169:170], v[108:109], s[4:5], v[171:172]
	v_add_f64_e32 v[128:129], v[181:182], v[134:135]
	v_fma_f64 v[191:192], v[108:109], s[22:23], v[138:139]
	v_fma_f64 v[138:139], v[108:109], s[22:23], -v[138:139]
	v_fma_f64 v[171:172], v[108:109], s[4:5], -v[171:172]
	v_fma_f64 v[197:198], v[108:109], s[14:15], v[130:131]
	v_fma_f64 v[108:109], v[108:109], s[14:15], -v[130:131]
	v_add_f64_e32 v[130:131], v[179:180], v[136:137]
	v_add_f64_e32 v[132:133], v[151:152], v[161:162]
	;; [unrolled: 1-line block ×6, first 2 shown]
	v_mul_f64_e32 v[116:117], s[14:15], v[56:57]
	v_mul_f64_e32 v[151:152], s[46:47], v[114:115]
	;; [unrolled: 1-line block ×4, first 2 shown]
	v_fma_f64 v[153:154], v[106:107], s[4:5], v[165:166]
	v_fma_f64 v[159:160], v[106:107], s[14:15], v[183:184]
	v_fma_f64 v[161:162], v[106:107], s[14:15], -v[183:184]
	v_fma_f64 v[163:164], v[106:107], s[10:11], v[185:186]
	v_fma_f64 v[177:178], v[106:107], s[40:41], -v[189:190]
	v_fma_f64 v[179:180], v[106:107], s[20:21], v[122:123]
	v_add_f64_e32 v[34:35], v[34:35], v[36:37]
	v_add_f64_e32 v[36:37], v[175:176], v[38:39]
	v_add_f64_e32 v[30:31], v[155:156], v[30:31]
	v_mul_f64_e32 v[38:39], s[22:23], v[56:57]
	v_add_f64_e32 v[40:41], v[40:41], v[110:111]
	v_add_f64_e32 v[42:43], v[42:43], v[112:113]
	;; [unrolled: 1-line block ×3, first 2 shown]
	v_fma_f64 v[110:111], v[106:107], s[12:13], v[187:188]
	v_fma_f64 v[112:113], v[106:107], s[12:13], -v[187:188]
	v_fma_f64 v[175:176], v[106:107], s[40:41], v[189:190]
	v_add_f64_e32 v[118:119], v[124:125], v[126:127]
	v_add_f64_e32 v[120:121], v[169:170], v[128:129]
	v_fma_f64 v[155:156], v[106:107], s[4:5], -v[165:166]
	v_fma_f64 v[165:166], v[106:107], s[10:11], -v[185:186]
	;; [unrolled: 1-line block ×3, first 2 shown]
	v_add_f64_e32 v[122:123], v[191:192], v[130:131]
	v_add_f64_e32 v[124:125], v[195:196], v[132:133]
	;; [unrolled: 1-line block ×7, first 2 shown]
	v_mul_f64_e32 v[108:109], s[4:5], v[44:45]
	v_mul_f64_e32 v[136:137], s[18:19], v[68:69]
	;; [unrolled: 1-line block ×5, first 2 shown]
	v_fma_f64 v[157:158], v[56:57], s[10:11], v[134:135]
	v_fma_f64 v[134:135], v[56:57], s[10:11], -v[134:135]
	v_fma_f64 v[167:168], v[56:57], s[12:13], v[145:146]
	v_fma_f64 v[145:146], v[56:57], s[12:13], -v[145:146]
	;; [unrolled: 2-line block ×3, first 2 shown]
	v_fma_f64 v[171:172], v[56:57], s[40:41], v[114:115]
	v_add_f64_e32 v[26:27], v[26:27], v[34:35]
	v_add_f64_e32 v[34:35], v[193:194], v[36:37]
	;; [unrolled: 1-line block ×3, first 2 shown]
	v_mul_f64_e32 v[36:37], s[12:13], v[44:45]
	v_add_f64_e32 v[38:39], v[38:39], v[60:61]
	v_add_f64_e32 v[60:61], v[116:117], v[64:65]
	v_add_f64_e32 v[40:41], v[40:41], v[50:51]
	v_add_f64_e32 v[42:43], v[42:43], v[58:59]
	v_mul_f64_e32 v[138:139], s[50:51], v[68:69]
	v_fma_f64 v[64:65], v[56:57], s[4:5], v[149:150]
	v_fma_f64 v[116:117], v[56:57], s[4:5], -v[149:150]
	v_fma_f64 v[149:150], v[56:57], s[24:25], v[151:152]
	v_add_f64_e32 v[50:51], v[110:111], v[118:119]
	v_add_f64_e32 v[58:59], v[112:113], v[62:63]
	;; [unrolled: 1-line block ×3, first 2 shown]
	v_mul_f64_e32 v[68:69], s[44:45], v[68:69]
	v_fma_f64 v[151:152], v[56:57], s[24:25], -v[151:152]
	v_fma_f64 v[56:57], v[56:57], s[40:41], -v[114:115]
	v_add_f64_e32 v[114:115], v[153:154], v[122:123]
	v_add_f64_e32 v[110:111], v[179:180], v[124:125]
	;; [unrolled: 1-line block ×7, first 2 shown]
	v_mul_f64_e32 v[106:107], s[24:25], v[4:5]
	v_mul_f64_e32 v[120:121], s[18:19], v[52:53]
	;; [unrolled: 1-line block ×7, first 2 shown]
	v_fma_f64 v[153:154], v[44:45], s[40:41], v[126:127]
	v_fma_f64 v[126:127], v[44:45], s[40:41], -v[126:127]
	v_add_f64_e32 v[22:23], v[22:23], v[26:27]
	v_add_f64_e32 v[26:27], v[159:160], v[34:35]
	;; [unrolled: 1-line block ×3, first 2 shown]
	v_mul_f64_e32 v[34:35], s[40:41], v[4:5]
	v_add_f64_e32 v[32:33], v[36:37], v[32:33]
	v_add_f64_e32 v[36:37], v[108:109], v[48:49]
	;; [unrolled: 1-line block ×4, first 2 shown]
	v_fma_f64 v[48:49], v[44:45], s[14:15], v[136:137]
	v_fma_f64 v[108:109], v[44:45], s[14:15], -v[136:137]
	v_fma_f64 v[136:137], v[44:45], s[20:21], v[138:139]
	v_fma_f64 v[155:156], v[44:45], s[10:11], v[128:129]
	v_add_f64_e32 v[42:43], v[64:65], v[50:51]
	v_add_f64_e32 v[50:51], v[116:117], v[58:59]
	;; [unrolled: 1-line block ×3, first 2 shown]
	v_fma_f64 v[128:129], v[44:45], s[10:11], -v[128:129]
	v_fma_f64 v[159:160], v[44:45], s[24:25], v[132:133]
	v_fma_f64 v[132:133], v[44:45], s[24:25], -v[132:133]
	v_fma_f64 v[138:139], v[44:45], s[20:21], -v[138:139]
	v_fma_f64 v[161:162], v[44:45], s[22:23], v[68:69]
	v_fma_f64 v[44:45], v[44:45], s[22:23], -v[68:69]
	v_add_f64_e32 v[68:69], v[157:158], v[114:115]
	v_add_f64_e32 v[60:61], v[171:172], v[110:111]
	;; [unrolled: 1-line block ×7, first 2 shown]
	v_mul_f64_e32 v[64:65], s[40:41], v[0:1]
	v_add_f64_e32 v[24:25], v[106:107], v[24:25]
	v_mul_f64_e32 v[66:67], s[18:19], v[28:29]
	v_mul_f64_e32 v[70:71], s[28:29], v[28:29]
	;; [unrolled: 1-line block ×6, first 2 shown]
	v_fma_f64 v[106:107], v[4:5], s[14:15], -v[120:121]
	v_fma_f64 v[145:146], v[4:5], s[4:5], v[118:119]
	v_add_f64_e32 v[18:19], v[18:19], v[22:23]
	v_add_f64_e32 v[22:23], v[167:168], v[26:27]
	;; [unrolled: 1-line block ×3, first 2 shown]
	v_mul_f64_e32 v[30:31], s[20:21], v[0:1]
	v_add_f64_e32 v[20:21], v[34:35], v[20:21]
	v_fma_f64 v[34:35], v[4:5], s[14:15], v[120:121]
	v_add_f64_e32 v[32:33], v[32:33], v[38:39]
	v_add_f64_e32 v[36:37], v[36:37], v[40:41]
	v_fma_f64 v[120:121], v[4:5], s[20:21], v[124:125]
	v_fma_f64 v[134:135], v[4:5], s[12:13], v[112:113]
	v_fma_f64 v[112:113], v[4:5], s[12:13], -v[112:113]
	v_fma_f64 v[118:119], v[4:5], s[4:5], -v[118:119]
	v_add_f64_e32 v[38:39], v[136:137], v[42:43]
	v_fma_f64 v[124:125], v[4:5], s[20:21], -v[124:125]
	v_add_f64_e32 v[42:43], v[48:49], v[58:59]
	v_fma_f64 v[147:148], v[4:5], s[10:11], v[130:131]
	v_fma_f64 v[130:131], v[4:5], s[10:11], -v[130:131]
	v_fma_f64 v[149:150], v[4:5], s[22:23], v[52:53]
	v_fma_f64 v[4:5], v[4:5], s[22:23], -v[52:53]
	v_add_f64_e32 v[40:41], v[138:139], v[50:51]
	v_add_f64_e32 v[52:53], v[153:154], v[68:69]
	;; [unrolled: 1-line block ×9, first 2 shown]
	v_fma_f64 v[56:57], v[0:1], s[14:15], -v[66:67]
	v_fma_f64 v[58:59], v[0:1], s[24:25], v[70:71]
	v_fma_f64 v[62:63], v[0:1], s[12:13], v[110:111]
	v_fma_f64 v[60:61], v[0:1], s[24:25], -v[70:71]
	v_fma_f64 v[64:65], v[0:1], s[10:11], -v[116:117]
	v_fma_f64 v[70:71], v[0:1], s[4:5], v[122:123]
	v_fma_f64 v[108:109], v[0:1], s[4:5], -v[122:123]
	v_add_f64_e32 v[10:11], v[10:11], v[18:19]
	v_add_f64_e32 v[18:19], v[155:156], v[22:23]
	;; [unrolled: 1-line block ×4, first 2 shown]
	v_fma_f64 v[26:27], v[0:1], s[14:15], v[66:67]
	v_fma_f64 v[66:67], v[0:1], s[12:13], -v[110:111]
	v_add_f64_e32 v[20:21], v[20:21], v[32:33]
	v_add_f64_e32 v[24:25], v[24:25], v[36:37]
	v_fma_f64 v[30:31], v[0:1], s[10:11], v[116:117]
	v_fma_f64 v[110:111], v[0:1], s[22:23], v[28:29]
	v_fma_f64 v[0:1], v[0:1], s[22:23], -v[28:29]
	v_add_f64_e32 v[32:33], v[34:35], v[38:39]
	v_add_f64_e32 v[36:37], v[120:121], v[42:43]
	;; [unrolled: 1-line block ×28, first 2 shown]
	v_lshlrev_b32_e32 v18, 7, v101
	s_delay_alu instid0(VALU_DEP_1)
	v_add3_u32 v18, v142, v18, v144
	ds_store_2addr_b64 v18, v[8:9], v[16:17] offset0:4 offset1:5
	ds_store_2addr_b64 v18, v[20:21], v[24:25] offset0:6 offset1:7
	ds_store_2addr_b64 v18, v[28:29], v[30:31] offset0:8 offset1:9
	ds_store_2addr_b64 v18, v[32:33], v[0:1] offset0:10 offset1:11
	ds_store_2addr_b64 v18, v[92:93], v[94:95] offset0:12 offset1:13
	ds_store_2addr_b64 v18, v[34:35], v[4:5] offset0:14 offset1:15
	ds_store_2addr_b64 v18, v[2:3], v[22:23] offset1:1
	ds_store_2addr_b64 v18, v[6:7], v[26:27] offset0:2 offset1:3
	ds_store_b64 v18, v[10:11] offset:128
.LBB0_18:
	s_or_b32 exec_lo, exec_lo, s33
	v_add_nc_u32_e32 v8, 0x400, v141
	v_add_nc_u32_e32 v20, 0x800, v141
	global_wb scope:SCOPE_SE
	s_wait_dscnt 0x0
	s_barrier_signal -1
	s_barrier_wait -1
	global_inv scope:SCOPE_SE
	ds_load_2addr_b64 v[0:3], v141 offset0:170 offset1:221
	ds_load_2addr_b64 v[4:7], v141 offset0:34 offset1:68
	;; [unrolled: 1-line block ×5, first 2 shown]
	ds_load_b64 v[52:53], v140
	ds_load_b64 v[54:55], v141 offset:3128
	s_and_saveexec_b32 s1, s0
	s_cbranch_execz .LBB0_20
; %bb.19:
	v_add_nc_u32_e32 v24, 0x600, v141
	ds_load_2addr_b64 v[92:95], v24 offset0:12 offset1:233
.LBB0_20:
	s_wait_alu 0xfffe
	s_or_b32 exec_lo, exec_lo, s1
	v_add_nc_u16 v26, v101, 34
	v_add_nc_u16 v27, v101, 0x44
	;; [unrolled: 1-line block ×5, first 2 shown]
	v_and_b32_e32 v31, 0xff, v26
	v_dual_mov_b32 v57, 0 :: v_dual_and_b32 v32, 0xff, v27
	v_and_b32_e32 v33, 0xff, v28
	v_and_b32_e32 v34, 0xff, v29
	;; [unrolled: 1-line block ×3, first 2 shown]
	v_mul_lo_u16 v31, 0xf1, v31
	v_mul_lo_u16 v32, 0xf1, v32
	;; [unrolled: 1-line block ×5, first 2 shown]
	v_lshrrev_b16 v71, 12, v31
	v_subrev_nc_u32_e32 v24, 17, v101
	v_lshrrev_b16 v110, 12, v32
	v_lshrrev_b16 v111, 12, v33
	;; [unrolled: 1-line block ×4, first 2 shown]
	v_mul_lo_u16 v31, v71, 17
	v_cndmask_b32_e64 v56, v24, v101, s0
	v_mul_lo_u16 v32, v110, 17
	v_mul_lo_u16 v33, v111, 17
	;; [unrolled: 1-line block ×4, first 2 shown]
	v_sub_nc_u16 v26, v26, v31
	v_lshlrev_b64_e32 v[24:25], 4, v[56:57]
	v_sub_nc_u16 v27, v27, v32
	v_sub_nc_u16 v28, v28, v33
	;; [unrolled: 1-line block ×4, first 2 shown]
	v_and_b32_e32 v114, 0xff, v26
	v_and_b32_e32 v115, 0xff, v27
	v_add_co_u32 v24, s1, s8, v24
	v_and_b32_e32 v116, 0xff, v28
	v_and_b32_e32 v117, 0xff, v29
	;; [unrolled: 1-line block ×3, first 2 shown]
	s_wait_alu 0xf1ff
	v_add_co_ci_u32_e64 v25, s1, s9, v25, s1
	v_lshlrev_b32_e32 v28, 4, v114
	v_lshlrev_b32_e32 v29, 4, v115
	;; [unrolled: 1-line block ×5, first 2 shown]
	s_clause 0x5
	global_load_b128 v[24:27], v[24:25], off
	global_load_b128 v[32:35], v28, s[8:9]
	global_load_b128 v[36:39], v29, s[8:9]
	;; [unrolled: 1-line block ×5, first 2 shown]
	v_add_nc_u16 v28, v101, 0xcc
	v_cmp_lt_u32_e64 s1, 16, v101
	v_lshlrev_b32_e32 v56, 3, v56
	s_delay_alu instid0(VALU_DEP_3) | instskip(NEXT) | instid1(VALU_DEP_1)
	v_and_b32_e32 v29, 0xff, v28
	v_mul_lo_u16 v29, 0xf1, v29
	s_delay_alu instid0(VALU_DEP_1) | instskip(NEXT) | instid1(VALU_DEP_1)
	v_lshrrev_b16 v29, 12, v29
	v_mul_lo_u16 v29, v29, 17
	s_delay_alu instid0(VALU_DEP_1) | instskip(NEXT) | instid1(VALU_DEP_1)
	v_sub_nc_u16 v28, v28, v29
	v_and_b32_e32 v119, 0xff, v28
	s_delay_alu instid0(VALU_DEP_1)
	v_lshlrev_b32_e32 v28, 4, v119
	global_load_b128 v[28:31], v28, s[8:9]
	global_wb scope:SCOPE_SE
	s_wait_loadcnt_dscnt 0x0
	s_barrier_signal -1
	s_barrier_wait -1
	global_inv scope:SCOPE_SE
	v_mul_f64_e32 v[57:58], v[2:3], v[26:27]
	v_mul_f64_e32 v[59:60], v[16:17], v[34:35]
	;; [unrolled: 1-line block ×6, first 2 shown]
	v_fma_f64 v[57:58], v[82:83], v[24:25], -v[57:58]
	v_fma_f64 v[59:60], v[76:77], v[32:33], -v[59:60]
	;; [unrolled: 1-line block ×6, first 2 shown]
	v_add_f64_e64 v[69:70], v[104:105], -v[57:58]
	v_add_f64_e64 v[106:107], v[88:89], -v[59:60]
	;; [unrolled: 1-line block ×6, first 2 shown]
	s_wait_alu 0xf1ff
	v_cndmask_b32_e64 v57, 0, 0x110, s1
	v_and_b32_e32 v58, 0xffff, v110
	v_and_b32_e32 v59, 0xffff, v111
	;; [unrolled: 1-line block ×4, first 2 shown]
	v_add_nc_u32_e32 v57, 0, v57
	v_lshlrev_b32_e32 v113, 3, v118
	v_mad_u32_u24 v110, 0x110, v59, 0
	v_mad_u32_u24 v111, 0x110, v60, 0
	;; [unrolled: 1-line block ×3, first 2 shown]
	v_add3_u32 v56, v57, v56, v144
	v_and_b32_e32 v57, 0xffff, v71
	v_mad_u32_u24 v71, 0x110, v58, 0
	v_lshlrev_b32_e32 v58, 3, v114
	v_lshlrev_b32_e32 v59, 3, v115
	;; [unrolled: 1-line block ×3, first 2 shown]
	v_mad_u32_u24 v62, 0x110, v57, 0
	v_lshlrev_b32_e32 v61, 3, v117
	v_lshlrev_b32_e32 v57, 3, v119
	v_add3_u32 v59, v71, v59, v144
	v_add3_u32 v60, v110, v60, v144
	;; [unrolled: 1-line block ×5, first 2 shown]
	v_fma_f64 v[104:105], v[104:105], 2.0, -v[69:70]
	v_fma_f64 v[88:89], v[88:89], 2.0, -v[106:107]
	;; [unrolled: 1-line block ×6, first 2 shown]
	ds_store_2addr_b64 v56, v[104:105], v[69:70] offset1:17
	ds_store_2addr_b64 v58, v[88:89], v[106:107] offset1:17
	;; [unrolled: 1-line block ×6, first 2 shown]
	s_and_saveexec_b32 s1, s0
	s_cbranch_execz .LBB0_22
; %bb.21:
	v_mul_f64_e32 v[63:64], v[94:95], v[30:31]
	v_add3_u32 v65, 0, v57, v144
	s_delay_alu instid0(VALU_DEP_1) | instskip(NEXT) | instid1(VALU_DEP_3)
	v_add_nc_u32_e32 v65, 0x800, v65
	v_fma_f64 v[63:64], v[14:15], v[28:29], -v[63:64]
	s_delay_alu instid0(VALU_DEP_1) | instskip(NEXT) | instid1(VALU_DEP_1)
	v_add_f64_e64 v[63:64], v[12:13], -v[63:64]
	v_fma_f64 v[12:13], v[12:13], 2.0, -v[63:64]
	ds_store_2addr_b64 v65, v[12:13], v[63:64] offset0:152 offset1:169
.LBB0_22:
	s_wait_alu 0xfffe
	s_or_b32 exec_lo, exec_lo, s1
	v_mul_f64_e32 v[12:13], v[82:83], v[26:27]
	v_mul_f64_e32 v[26:27], v[76:77], v[34:35]
	;; [unrolled: 1-line block ×6, first 2 shown]
	global_wb scope:SCOPE_SE
	s_wait_dscnt 0x0
	s_barrier_signal -1
	s_barrier_wait -1
	global_inv scope:SCOPE_SE
	v_fma_f64 v[2:3], v[2:3], v[24:25], v[12:13]
	v_fma_f64 v[12:13], v[16:17], v[32:33], v[26:27]
	;; [unrolled: 1-line block ×6, first 2 shown]
	v_add_f64_e64 v[32:33], v[52:53], -v[2:3]
	v_add_f64_e64 v[34:35], v[4:5], -v[12:13]
	;; [unrolled: 1-line block ×6, first 2 shown]
	v_add_nc_u32_e32 v20, 0x800, v141
	ds_load_b64 v[12:13], v140
	v_fma_f64 v[44:45], v[52:53], 2.0, -v[32:33]
	v_fma_f64 v[46:47], v[4:5], 2.0, -v[34:35]
	;; [unrolled: 1-line block ×6, first 2 shown]
	v_add_nc_u32_e32 v4, 0x400, v141
	ds_load_2addr_b64 v[8:11], v141 offset0:34 offset1:68
	ds_load_2addr_b64 v[16:19], v141 offset0:102 offset1:136
	;; [unrolled: 1-line block ×6, first 2 shown]
	global_wb scope:SCOPE_SE
	s_wait_dscnt 0x0
	s_barrier_signal -1
	s_barrier_wait -1
	global_inv scope:SCOPE_SE
	ds_store_2addr_b64 v56, v[44:45], v[32:33] offset1:17
	ds_store_2addr_b64 v58, v[46:47], v[34:35] offset1:17
	;; [unrolled: 1-line block ×6, first 2 shown]
	s_and_saveexec_b32 s1, s0
	s_cbranch_execz .LBB0_24
; %bb.23:
	v_mul_f64_e32 v[14:15], v[14:15], v[30:31]
	v_add3_u32 v30, 0, v57, v144
	s_delay_alu instid0(VALU_DEP_1) | instskip(NEXT) | instid1(VALU_DEP_3)
	v_add_nc_u32_e32 v30, 0x800, v30
	v_fma_f64 v[14:15], v[94:95], v[28:29], v[14:15]
	s_delay_alu instid0(VALU_DEP_1) | instskip(NEXT) | instid1(VALU_DEP_1)
	v_add_f64_e64 v[14:15], v[92:93], -v[14:15]
	v_fma_f64 v[28:29], v[92:93], 2.0, -v[14:15]
	ds_store_2addr_b64 v30, v[28:29], v[14:15] offset0:152 offset1:169
.LBB0_24:
	s_wait_alu 0xfffe
	s_or_b32 exec_lo, exec_lo, s1
	global_wb scope:SCOPE_SE
	s_wait_dscnt 0x0
	s_barrier_signal -1
	s_barrier_wait -1
	global_inv scope:SCOPE_SE
	s_and_saveexec_b32 s0, vcc_lo
	s_cbranch_execz .LBB0_26
; %bb.25:
	v_mul_u32_u24_e32 v14, 12, v101
	v_add_nc_u32_e32 v34, 0x800, v141
	v_add_nc_u32_e32 v35, 0x400, v141
	s_mov_b32 s22, 0xb2365da1
	s_mov_b32 s18, 0x1ea71119
	v_lshlrev_b32_e32 v14, 4, v14
	s_mov_b32 s20, 0x42a4c3d2
	s_mov_b32 s14, 0x24c2f84
	;; [unrolled: 1-line block ×4, first 2 shown]
	s_clause 0xb
	global_load_b128 v[36:39], v14, s[8:9] offset:320
	global_load_b128 v[42:45], v14, s[8:9] offset:400
	;; [unrolled: 1-line block ×12, first 2 shown]
	ds_load_2addr_b64 v[88:91], v141 offset0:34 offset1:68
	ds_load_2addr_b64 v[28:31], v141 offset0:102 offset1:136
	;; [unrolled: 1-line block ×6, first 2 shown]
	s_mov_b32 s0, 0xebaa3ed8
	s_mov_b32 s4, 0x66966769
	s_mov_b32 s23, 0xbfd6b1d8
	s_mov_b32 s19, 0x3fe22d96
	s_mov_b32 s21, 0xbfea55e2
	s_mov_b32 s8, 0xd0032e0c
	s_mov_b32 s15, 0x3fe5384d
	s_mov_b32 s10, 0xe00740e9
	s_mov_b32 s12, 0x4267c47c
	s_mov_b32 s17, 0xbfef11f4
	s_mov_b32 s25, 0x3fcea1e5
	s_mov_b32 s39, 0xbfe5384d
	s_mov_b32 s35, 0xbfcea1e5
	s_wait_alu 0xfffe
	s_mov_b32 s38, s14
	s_mov_b32 s34, s24
	;; [unrolled: 1-line block ×13, first 2 shown]
	s_wait_alu 0xfffe
	s_mov_b32 s30, s26
	s_mov_b32 s40, s20
	;; [unrolled: 1-line block ×4, first 2 shown]
	s_wait_loadcnt 0xb
	v_mul_f64_e32 v[14:15], v[18:19], v[38:39]
	s_wait_loadcnt 0xa
	v_mul_f64_e32 v[32:33], v[24:25], v[44:45]
	;; [unrolled: 2-line block ×7, first 2 shown]
	s_wait_dscnt 0x5
	v_mul_f64_e32 v[66:67], v[88:89], v[66:67]
	s_wait_loadcnt 0x4
	v_mul_f64_e32 v[119:120], v[22:23], v[70:71]
	s_wait_dscnt 0x2
	v_mul_f64_e32 v[70:71], v[103:104], v[70:71]
	v_mul_f64_e32 v[38:39], v[30:31], v[38:39]
	;; [unrolled: 1-line block ×7, first 2 shown]
	s_wait_loadcnt 0x3
	v_mul_f64_e32 v[123:124], v[2:3], v[74:75]
	s_wait_loadcnt 0x2
	v_mul_f64_e32 v[125:126], v[4:5], v[78:79]
	s_wait_dscnt 0x1
	v_mul_f64_e32 v[74:75], v[107:108], v[74:75]
	s_wait_dscnt 0x0
	v_mul_f64_e32 v[78:79], v[109:110], v[78:79]
	s_wait_loadcnt 0x1
	v_mul_f64_e32 v[127:128], v[0:1], v[82:83]
	s_wait_loadcnt 0x0
	v_mul_f64_e32 v[129:130], v[6:7], v[86:87]
	v_mul_f64_e32 v[82:83], v[105:106], v[82:83]
	;; [unrolled: 1-line block ×3, first 2 shown]
	v_fma_f64 v[34:35], v[30:31], v[36:37], v[14:15]
	v_fma_f64 v[32:33], v[92:93], v[42:43], v[32:33]
	v_fma_f64 v[40:41], v[28:29], v[48:49], v[40:41]
	v_fma_f64 v[30:31], v[94:95], v[52:53], v[46:47]
	v_fma_f64 v[46:47], v[90:91], v[56:57], v[113:114]
	v_fma_f64 v[28:29], v[101:102], v[60:61], v[115:116]
	v_fma_f64 v[62:63], v[88:89], v[64:65], v[117:118]
	v_fma_f64 v[64:65], v[8:9], v[64:65], -v[66:67]
	v_fma_f64 v[14:15], v[103:104], v[68:69], v[119:120]
	v_fma_f64 v[8:9], v[22:23], v[68:69], -v[70:71]
	ds_load_b64 v[22:23], v140
	v_fma_f64 v[36:37], v[18:19], v[36:37], -v[38:39]
	v_fma_f64 v[18:19], v[24:25], v[42:43], -v[44:45]
	;; [unrolled: 1-line block ×6, first 2 shown]
	v_fma_f64 v[26:27], v[107:108], v[72:73], v[123:124]
	v_fma_f64 v[38:39], v[2:3], v[72:73], -v[74:75]
	v_fma_f64 v[2:3], v[4:5], v[76:77], -v[78:79]
	v_fma_f64 v[44:45], v[105:106], v[80:81], v[127:128]
	v_fma_f64 v[24:25], v[109:110], v[76:77], v[125:126]
	v_fma_f64 v[4:5], v[0:1], v[80:81], -v[82:83]
	v_fma_f64 v[0:1], v[6:7], v[84:85], -v[86:87]
	v_fma_f64 v[20:21], v[111:112], v[84:85], v[129:130]
	v_add_f64_e32 v[50:51], v[34:35], v[32:33]
	v_add_f64_e64 v[58:59], v[34:35], -v[32:33]
	v_add_f64_e32 v[52:53], v[40:41], v[30:31]
	v_add_f64_e64 v[60:61], v[40:41], -v[30:31]
	v_add_f64_e32 v[54:55], v[46:47], v[28:29]
	s_wait_dscnt 0x0
	v_add_f64_e32 v[66:67], v[22:23], v[62:63]
	v_add_f64_e32 v[68:69], v[12:13], v[64:65]
	v_add_f64_e64 v[6:7], v[46:47], -v[28:29]
	v_add_f64_e32 v[56:57], v[62:63], v[14:15]
	v_add_f64_e64 v[62:63], v[62:63], -v[14:15]
	v_add_f64_e64 v[76:77], v[64:65], -v[8:9]
	v_add_f64_e64 v[70:71], v[36:37], -v[18:19]
	v_add_f64_e32 v[78:79], v[36:37], v[18:19]
	v_add_f64_e32 v[64:65], v[64:65], v[8:9]
	v_add_f64_e64 v[74:75], v[48:49], -v[10:11]
	v_add_f64_e32 v[82:83], v[48:49], v[10:11]
	v_add_f64_e64 v[72:73], v[42:43], -v[16:17]
	;; [unrolled: 2-line block ×3, first 2 shown]
	v_add_f64_e32 v[101:102], v[38:39], v[2:3]
	v_add_f64_e32 v[84:85], v[26:27], v[24:25]
	v_add_f64_e64 v[88:89], v[26:27], -v[24:25]
	v_add_f64_e64 v[94:95], v[4:5], -v[0:1]
	v_add_f64_e32 v[103:104], v[4:5], v[0:1]
	v_add_f64_e32 v[86:87], v[44:45], v[20:21]
	v_add_f64_e64 v[90:91], v[44:45], -v[20:21]
	v_mul_f64_e32 v[105:106], s[18:19], v[50:51]
	v_mul_f64_e32 v[119:120], s[16:17], v[50:51]
	;; [unrolled: 1-line block ×5, first 2 shown]
	v_add_f64_e32 v[46:47], v[46:47], v[66:67]
	v_add_f64_e32 v[48:49], v[48:49], v[68:69]
	v_mul_f64_e32 v[131:132], s[10:11], v[52:53]
	v_mul_f64_e32 v[111:112], s[16:17], v[56:57]
	;; [unrolled: 1-line block ×17, first 2 shown]
	s_wait_alu 0xfffe
	v_mul_f64_e32 v[113:114], s[40:41], v[58:59]
	v_mul_f64_e32 v[66:67], s[0:1], v[54:55]
	;; [unrolled: 1-line block ×19, first 2 shown]
	v_add_f64_e32 v[40:41], v[40:41], v[46:47]
	v_add_f64_e32 v[42:43], v[42:43], v[48:49]
	v_mul_f64_e32 v[48:49], s[20:21], v[62:63]
	v_mul_f64_e32 v[46:47], s[4:5], v[62:63]
	;; [unrolled: 1-line block ×4, first 2 shown]
	v_fma_f64 v[183:184], v[76:77], s[24:25], v[111:112]
	v_fma_f64 v[111:112], v[76:77], s[34:35], v[111:112]
	;; [unrolled: 1-line block ×5, first 2 shown]
	v_fma_f64 v[171:172], v[64:65], s[16:17], -v[171:172]
	v_fma_f64 v[237:238], v[64:65], s[8:9], v[173:174]
	v_mul_f64_e32 v[167:168], s[34:35], v[6:7]
	v_fma_f64 v[177:178], v[70:71], s[20:21], v[105:106]
	v_fma_f64 v[179:180], v[72:73], s[14:15], v[107:108]
	v_fma_f64 v[105:106], v[70:71], s[40:41], v[105:106]
	v_fma_f64 v[107:108], v[72:73], s[38:39], v[107:108]
	v_fma_f64 v[189:190], v[70:71], s[34:35], v[119:120]
	v_fma_f64 v[191:192], v[72:73], s[40:41], v[121:122]
	v_fma_f64 v[195:196], v[76:77], s[14:15], v[68:69]
	v_fma_f64 v[119:120], v[70:71], s[24:25], v[119:120]
	v_fma_f64 v[121:122], v[72:73], s[20:21], v[121:122]
	v_fma_f64 v[201:202], v[70:71], s[28:29], v[129:130]
	v_fma_f64 v[203:204], v[72:73], s[12:13], v[131:132]
	v_fma_f64 v[207:208], v[76:77], s[26:27], v[135:136]
	v_fma_f64 v[209:210], v[78:79], s[0:1], v[137:138]
	v_fma_f64 v[211:212], v[80:81], s[10:11], v[139:140]
	v_fma_f64 v[129:130], v[70:71], s[4:5], v[129:130]
	v_fma_f64 v[131:132], v[72:73], s[36:37], v[131:132]
	v_fma_f64 v[215:216], v[76:77], s[28:29], v[147:148]
	v_fma_f64 v[147:148], v[76:77], s[4:5], v[147:148]
	v_fma_f64 v[221:222], v[70:71], s[38:39], v[153:154]
	v_fma_f64 v[223:224], v[72:73], s[24:25], v[155:156]
	v_fma_f64 v[153:154], v[70:71], s[14:15], v[153:154]
	v_fma_f64 v[155:156], v[72:73], s[34:35], v[155:156]
	v_fma_f64 v[235:236], v[70:71], s[26:27], v[50:51]
	v_fma_f64 v[50:51], v[70:71], s[30:31], v[50:51]
	v_add_f64_e32 v[34:35], v[34:35], v[40:41]
	v_add_f64_e32 v[36:37], v[36:37], v[42:43]
	v_fma_f64 v[40:41], v[76:77], s[30:31], v[135:136]
	v_fma_f64 v[241:242], v[64:65], s[18:19], v[48:49]
	v_fma_f64 v[48:49], v[64:65], s[18:19], -v[48:49]
	v_fma_f64 v[42:43], v[78:79], s[0:1], -v[137:138]
	;; [unrolled: 1-line block ×3, first 2 shown]
	v_fma_f64 v[137:138], v[70:71], s[12:13], v[141:142]
	v_fma_f64 v[139:140], v[72:73], s[30:31], v[143:144]
	;; [unrolled: 1-line block ×6, first 2 shown]
	v_fma_f64 v[72:73], v[64:65], s[8:9], -v[173:174]
	v_fma_f64 v[239:240], v[64:65], s[0:1], v[46:47]
	v_fma_f64 v[46:47], v[64:65], s[0:1], -v[46:47]
	v_mul_f64_e32 v[165:166], s[14:15], v[6:7]
	v_fma_f64 v[185:186], v[78:79], s[18:19], v[113:114]
	v_fma_f64 v[113:114], v[78:79], s[18:19], -v[113:114]
	v_fma_f64 v[197:198], v[78:79], s[16:17], v[123:124]
	v_fma_f64 v[68:69], v[76:77], s[38:39], v[68:69]
	v_fma_f64 v[123:124], v[78:79], s[16:17], -v[123:124]
	v_fma_f64 v[217:218], v[78:79], s[10:11], v[149:150]
	v_fma_f64 v[149:150], v[78:79], s[10:11], -v[149:150]
	;; [unrolled: 2-line block ×3, first 2 shown]
	v_fma_f64 v[173:174], v[74:75], s[40:41], v[54:55]
	v_fma_f64 v[181:182], v[74:75], s[12:13], v[109:110]
	;; [unrolled: 1-line block ×11, first 2 shown]
	v_mul_f64_e32 v[6:7], s[20:21], v[6:7]
	v_add_f64_e32 v[34:35], v[44:45], v[34:35]
	v_add_f64_e32 v[4:5], v[4:5], v[36:37]
	v_fma_f64 v[44:45], v[74:75], s[20:21], v[54:55]
	v_fma_f64 v[36:37], v[76:77], s[36:37], v[56:57]
	;; [unrolled: 1-line block ×4, first 2 shown]
	v_fma_f64 v[58:59], v[78:79], s[22:23], -v[58:59]
	v_fma_f64 v[78:79], v[64:65], s[22:23], -v[175:176]
	v_fma_f64 v[74:75], v[64:65], s[22:23], v[175:176]
	v_fma_f64 v[243:244], v[64:65], s[10:11], v[62:63]
	v_fma_f64 v[62:63], v[64:65], s[10:11], -v[62:63]
	v_fma_f64 v[187:188], v[80:81], s[8:9], v[115:116]
	v_fma_f64 v[115:116], v[80:81], s[8:9], -v[115:116]
	;; [unrolled: 2-line block ×7, first 2 shown]
	v_fma_f64 v[175:176], v[82:83], s[0:1], v[127:128]
	v_add_f64_e32 v[111:112], v[22:23], v[111:112]
	v_add_f64_e32 v[171:172], v[12:13], v[171:172]
	v_fma_f64 v[247:248], v[82:83], s[22:23], v[169:170]
	v_fma_f64 v[169:170], v[82:83], s[22:23], -v[169:170]
	v_add_f64_e32 v[237:238], v[12:13], v[237:238]
	v_add_f64_e32 v[40:41], v[22:23], v[40:41]
	;; [unrolled: 1-line block ×4, first 2 shown]
	v_fma_f64 v[127:128], v[82:83], s[0:1], -v[127:128]
	v_fma_f64 v[245:246], v[82:83], s[16:17], v[167:168]
	v_fma_f64 v[167:168], v[82:83], s[16:17], -v[167:168]
	v_add_f64_e32 v[195:196], v[22:23], v[195:196]
	v_add_f64_e32 v[72:73], v[12:13], v[72:73]
	v_add_f64_e32 v[147:148], v[22:23], v[147:148]
	v_add_f64_e32 v[26:27], v[26:27], v[34:35]
	v_add_f64_e32 v[4:5], v[38:39], v[4:5]
	v_add_f64_e32 v[46:47], v[12:13], v[46:47]
	v_fma_f64 v[64:65], v[82:83], s[8:9], v[165:166]
	v_fma_f64 v[165:166], v[82:83], s[8:9], -v[165:166]
	v_add_f64_e32 v[68:69], v[22:23], v[68:69]
	v_add_f64_e32 v[233:234], v[12:13], v[233:234]
	;; [unrolled: 1-line block ×10, first 2 shown]
	v_fma_f64 v[249:250], v[82:83], s[18:19], v[6:7]
	v_fma_f64 v[6:7], v[82:83], s[18:19], -v[6:7]
	v_add_f64_e32 v[36:37], v[22:23], v[36:37]
	v_add_f64_e32 v[22:23], v[22:23], v[54:55]
	;; [unrolled: 1-line block ×4, first 2 shown]
	v_mul_f64_e32 v[34:35], s[22:23], v[86:87]
	v_mul_f64_e32 v[54:55], s[30:31], v[90:91]
	;; [unrolled: 1-line block ×3, first 2 shown]
	v_add_f64_e32 v[109:110], v[109:110], v[111:112]
	v_add_f64_e32 v[117:118], v[117:118], v[171:172]
	v_mul_f64_e32 v[111:112], s[36:37], v[90:91]
	v_mul_f64_e32 v[82:83], s[0:1], v[84:85]
	v_add_f64_e32 v[175:176], v[175:176], v[237:238]
	v_add_f64_e32 v[40:41], v[133:134], v[40:41]
	;; [unrolled: 1-line block ×4, first 2 shown]
	v_mul_f64_e32 v[133:134], s[0:1], v[86:87]
	v_mul_f64_e32 v[171:172], s[18:19], v[84:85]
	v_mul_f64_e32 v[237:238], s[40:41], v[88:89]
	v_add_f64_e32 v[193:194], v[193:194], v[195:196]
	v_add_f64_e32 v[72:73], v[127:128], v[72:73]
	;; [unrolled: 1-line block ×6, first 2 shown]
	v_mul_f64_e32 v[26:27], s[18:19], v[86:87]
	v_mul_f64_e32 v[195:196], s[16:17], v[86:87]
	v_add_f64_e32 v[66:67], v[66:67], v[68:69]
	v_add_f64_e32 v[80:81], v[80:81], v[233:234]
	;; [unrolled: 1-line block ×10, first 2 shown]
	v_mul_f64_e32 v[68:69], s[24:25], v[90:91]
	v_mul_f64_e32 v[207:208], s[20:21], v[90:91]
	v_add_f64_e32 v[36:37], v[173:174], v[36:37]
	v_add_f64_e32 v[22:23], v[44:45], v[22:23]
	v_mul_f64_e32 v[215:216], s[28:29], v[90:91]
	v_add_f64_e32 v[6:7], v[6:7], v[12:13]
	v_mul_f64_e32 v[90:91], s[38:39], v[90:91]
	v_mul_f64_e32 v[183:184], s[10:11], v[86:87]
	;; [unrolled: 1-line block ×3, first 2 shown]
	v_add_f64_e32 v[107:108], v[107:108], v[109:110]
	v_add_f64_e32 v[109:110], v[115:116], v[117:118]
	v_mul_f64_e32 v[74:75], s[10:11], v[84:85]
	v_mul_f64_e32 v[165:166], s[36:37], v[88:89]
	v_add_f64_e32 v[117:118], v[199:200], v[175:176]
	v_add_f64_e32 v[40:41], v[131:132], v[40:41]
	;; [unrolled: 1-line block ×4, first 2 shown]
	v_fma_f64 v[147:148], v[94:95], s[26:27], v[34:35]
	v_fma_f64 v[159:160], v[103:104], s[22:23], v[54:55]
	;; [unrolled: 1-line block ×3, first 2 shown]
	v_add_f64_e32 v[115:116], v[191:192], v[193:194]
	v_add_f64_e32 v[72:73], v[125:126], v[72:73]
	;; [unrolled: 1-line block ×7, first 2 shown]
	v_fma_f64 v[54:55], v[103:104], s[22:23], -v[54:55]
	v_add_f64_e32 v[66:67], v[121:122], v[66:67]
	v_add_f64_e32 v[80:81], v[187:188], v[80:81]
	;; [unrolled: 1-line block ×10, first 2 shown]
	v_fma_f64 v[169:170], v[92:93], s[26:27], v[62:63]
	v_fma_f64 v[173:174], v[103:104], s[10:11], v[111:112]
	v_add_f64_e32 v[36:37], v[70:71], v[36:37]
	v_add_f64_e32 v[22:23], v[52:53], v[22:23]
	v_fma_f64 v[20:21], v[92:93], s[30:31], v[62:63]
	v_add_f64_e32 v[6:7], v[60:61], v[6:7]
	v_fma_f64 v[62:63], v[103:104], s[10:11], -v[111:112]
	v_fma_f64 v[243:244], v[103:104], s[16:17], v[68:69]
	v_fma_f64 v[68:69], v[103:104], s[16:17], -v[68:69]
	v_fma_f64 v[52:53], v[103:104], s[18:19], -v[207:208]
	v_fma_f64 v[60:61], v[94:95], s[4:5], v[133:134]
	v_fma_f64 v[70:71], v[103:104], s[0:1], v[215:216]
	;; [unrolled: 1-line block ×3, first 2 shown]
	v_fma_f64 v[90:91], v[103:104], s[8:9], -v[90:91]
	v_mul_f64_e32 v[127:128], s[8:9], v[84:85]
	v_mul_f64_e32 v[4:5], s[38:39], v[88:89]
	v_add_f64_e32 v[48:49], v[161:162], v[48:49]
	v_mul_f64_e32 v[233:234], s[30:31], v[88:89]
	v_fma_f64 v[227:228], v[94:95], s[12:13], v[183:184]
	v_fma_f64 v[24:25], v[94:95], s[36:37], v[183:184]
	;; [unrolled: 1-line block ×3, first 2 shown]
	v_add_f64_e32 v[72:73], v[123:124], v[72:73]
	v_fma_f64 v[195:196], v[94:95], s[24:25], v[195:196]
	v_add_f64_e32 v[12:13], v[32:33], v[12:13]
	v_add_f64_e32 v[0:1], v[18:19], v[0:1]
	;; [unrolled: 1-line block ×3, first 2 shown]
	v_fma_f64 v[32:33], v[103:104], s[18:19], v[207:208]
	v_fma_f64 v[76:77], v[94:95], s[28:29], v[133:134]
	v_fma_f64 v[133:134], v[103:104], s[0:1], -v[215:216]
	v_add_f64_e32 v[103:104], v[105:106], v[107:108]
	v_add_f64_e32 v[105:106], v[113:114], v[109:110]
	;; [unrolled: 1-line block ×4, first 2 shown]
	v_fma_f64 v[18:19], v[94:95], s[40:41], v[26:27]
	v_fma_f64 v[26:27], v[94:95], s[20:21], v[26:27]
	v_add_f64_e32 v[107:108], v[189:190], v[115:116]
	v_add_f64_e32 v[115:116], v[141:142], v[125:126]
	v_add_f64_e32 v[46:47], v[149:150], v[46:47]
	v_add_f64_e32 v[66:67], v[119:120], v[66:67]
	v_add_f64_e32 v[40:41], v[129:130], v[40:41]
	v_add_f64_e32 v[42:43], v[42:43], v[78:79]
	v_mul_f64_e32 v[38:39], s[28:29], v[88:89]
	v_add_f64_e32 v[80:81], v[185:186], v[80:81]
	v_fma_f64 v[151:152], v[94:95], s[14:15], v[86:87]
	v_fma_f64 v[86:87], v[94:95], s[38:39], v[86:87]
	v_add_f64_e32 v[94:95], v[177:178], v[179:180]
	v_mul_f64_e32 v[84:85], s[16:17], v[84:85]
	v_add_f64_e32 v[113:114], v[201:202], v[121:122]
	v_add_f64_e32 v[64:65], v[209:210], v[64:65]
	;; [unrolled: 1-line block ×6, first 2 shown]
	v_mul_f64_e32 v[88:89], s[34:35], v[88:89]
	v_add_f64_e32 v[22:23], v[50:51], v[22:23]
	v_add_f64_e32 v[6:7], v[58:59], v[6:7]
	;; [unrolled: 1-line block ×3, first 2 shown]
	v_fma_f64 v[245:246], v[92:93], s[4:5], v[82:83]
	v_fma_f64 v[82:83], v[92:93], s[28:29], v[82:83]
	;; [unrolled: 1-line block ×4, first 2 shown]
	v_add_f64_e32 v[12:13], v[30:31], v[12:13]
	v_add_f64_e32 v[0:1], v[16:17], v[0:1]
	;; [unrolled: 1-line block ×3, first 2 shown]
	v_fma_f64 v[129:130], v[101:102], s[10:11], -v[165:166]
	v_fma_f64 v[30:31], v[92:93], s[38:39], v[127:128]
	v_add_f64_e32 v[48:49], v[133:134], v[48:49]
	v_add_f64_e32 v[34:35], v[34:35], v[103:104]
	v_fma_f64 v[58:59], v[101:102], s[8:9], -v[4:5]
	v_add_f64_e32 v[62:63], v[62:63], v[72:73]
	v_add_f64_e32 v[76:77], v[76:77], v[117:118]
	v_fma_f64 v[247:248], v[101:102], s[22:23], v[233:234]
	v_fma_f64 v[44:45], v[101:102], s[22:23], -v[233:234]
	v_fma_f64 v[111:112], v[92:93], s[20:21], v[171:172]
	v_add_f64_e32 v[72:73], v[26:27], v[115:116]
	v_add_f64_e32 v[46:47], v[52:53], v[46:47]
	v_fma_f64 v[233:234], v[101:102], s[18:19], v[237:238]
	v_fma_f64 v[171:172], v[92:93], s[40:41], v[171:172]
	v_fma_f64 v[237:238], v[101:102], s[18:19], -v[237:238]
	v_add_f64_e32 v[24:25], v[24:25], v[66:67]
	v_add_f64_e32 v[40:41], v[195:196], v[40:41]
	;; [unrolled: 1-line block ×3, first 2 shown]
	v_fma_f64 v[167:168], v[101:102], s[0:1], v[38:39]
	v_add_f64_e32 v[16:17], v[159:160], v[80:81]
	v_fma_f64 v[38:39], v[101:102], s[0:1], -v[38:39]
	v_fma_f64 v[56:57], v[101:102], s[8:9], v[4:5]
	v_add_f64_e32 v[4:5], v[147:148], v[94:95]
	v_add_f64_e32 v[54:55], v[54:55], v[105:106]
	v_fma_f64 v[50:51], v[92:93], s[14:15], v[127:128]
	v_fma_f64 v[131:132], v[92:93], s[24:25], v[84:85]
	;; [unrolled: 1-line block ×3, first 2 shown]
	v_add_f64_e32 v[80:81], v[227:228], v[107:108]
	v_add_f64_e32 v[92:93], v[173:174], v[109:110]
	;; [unrolled: 1-line block ×6, first 2 shown]
	v_fma_f64 v[127:128], v[101:102], s[10:11], v[165:166]
	v_add_f64_e32 v[60:61], v[60:61], v[121:122]
	v_add_f64_e32 v[70:71], v[70:71], v[123:124]
	v_fma_f64 v[135:136], v[101:102], s[16:17], v[88:89]
	v_fma_f64 v[88:89], v[101:102], s[16:17], -v[88:89]
	v_add_f64_e32 v[86:87], v[86:87], v[22:23]
	v_add_f64_e32 v[90:91], v[90:91], v[6:7]
	;; [unrolled: 1-line block ×6, first 2 shown]
	v_mul_lo_u32 v0, s3, v98
	v_mul_lo_u32 v1, s2, v99
	v_mad_co_u64_u32 v[98:99], null, s2, v98, 0
	v_add_f64_e32 v[6:7], v[82:83], v[34:35]
	v_add_f64_e32 v[34:35], v[74:75], v[76:77]
	;; [unrolled: 1-line block ×8, first 2 shown]
	v_add3_u32 v99, v99, v1, v0
	v_add_f64_e32 v[0:1], v[167:168], v[16:17]
	v_add_f64_e32 v[16:17], v[44:45], v[62:63]
	;; [unrolled: 1-line block ×16, first 2 shown]
	v_mov_b32_e32 v101, 0
	v_add_f64_e32 v[46:47], v[131:132], v[78:79]
	v_add_f64_e32 v[44:45], v[135:136], v[103:104]
	v_lshlrev_b64_e32 v[8:9], 4, v[98:99]
	v_lshlrev_b64_e32 v[14:15], 4, v[96:97]
	s_delay_alu instid0(VALU_DEP_2) | instskip(SKIP_1) | instid1(VALU_DEP_3)
	v_add_co_u32 v56, vcc_lo, s6, v8
	s_wait_alu 0xfffd
	v_add_co_ci_u32_e32 v57, vcc_lo, s7, v9, vcc_lo
	v_lshlrev_b64_e32 v[8:9], 4, v[100:101]
	s_delay_alu instid0(VALU_DEP_3) | instskip(SKIP_1) | instid1(VALU_DEP_3)
	v_add_co_u32 v14, vcc_lo, v56, v14
	s_wait_alu 0xfffd
	v_add_co_ci_u32_e32 v15, vcc_lo, v57, v15, vcc_lo
	s_delay_alu instid0(VALU_DEP_2) | instskip(SKIP_1) | instid1(VALU_DEP_2)
	v_add_co_u32 v8, vcc_lo, v14, v8
	s_wait_alu 0xfffd
	v_add_co_ci_u32_e32 v9, vcc_lo, v15, v9, vcc_lo
	s_clause 0xc
	global_store_b128 v[8:9], v[32:35], off offset:1088
	global_store_b128 v[8:9], v[28:31], off offset:1632
	;; [unrolled: 1-line block ×11, first 2 shown]
	global_store_b128 v[8:9], v[52:55], off
	global_store_b128 v[8:9], v[44:47], off offset:6528
.LBB0_26:
	s_nop 0
	s_sendmsg sendmsg(MSG_DEALLOC_VGPRS)
	s_endpgm
	.section	.rodata,"a",@progbits
	.p2align	6, 0x0
	.amdhsa_kernel fft_rtc_fwd_len442_factors_17_2_13_wgs_238_tpt_34_halfLds_dp_op_CI_CI_unitstride_sbrr_dirReg
		.amdhsa_group_segment_fixed_size 0
		.amdhsa_private_segment_fixed_size 0
		.amdhsa_kernarg_size 104
		.amdhsa_user_sgpr_count 2
		.amdhsa_user_sgpr_dispatch_ptr 0
		.amdhsa_user_sgpr_queue_ptr 0
		.amdhsa_user_sgpr_kernarg_segment_ptr 1
		.amdhsa_user_sgpr_dispatch_id 0
		.amdhsa_user_sgpr_private_segment_size 0
		.amdhsa_wavefront_size32 1
		.amdhsa_uses_dynamic_stack 0
		.amdhsa_enable_private_segment 0
		.amdhsa_system_sgpr_workgroup_id_x 1
		.amdhsa_system_sgpr_workgroup_id_y 0
		.amdhsa_system_sgpr_workgroup_id_z 0
		.amdhsa_system_sgpr_workgroup_info 0
		.amdhsa_system_vgpr_workitem_id 0
		.amdhsa_next_free_vgpr 251
		.amdhsa_next_free_sgpr 58
		.amdhsa_reserve_vcc 1
		.amdhsa_float_round_mode_32 0
		.amdhsa_float_round_mode_16_64 0
		.amdhsa_float_denorm_mode_32 3
		.amdhsa_float_denorm_mode_16_64 3
		.amdhsa_fp16_overflow 0
		.amdhsa_workgroup_processor_mode 1
		.amdhsa_memory_ordered 1
		.amdhsa_forward_progress 0
		.amdhsa_round_robin_scheduling 0
		.amdhsa_exception_fp_ieee_invalid_op 0
		.amdhsa_exception_fp_denorm_src 0
		.amdhsa_exception_fp_ieee_div_zero 0
		.amdhsa_exception_fp_ieee_overflow 0
		.amdhsa_exception_fp_ieee_underflow 0
		.amdhsa_exception_fp_ieee_inexact 0
		.amdhsa_exception_int_div_zero 0
	.end_amdhsa_kernel
	.text
.Lfunc_end0:
	.size	fft_rtc_fwd_len442_factors_17_2_13_wgs_238_tpt_34_halfLds_dp_op_CI_CI_unitstride_sbrr_dirReg, .Lfunc_end0-fft_rtc_fwd_len442_factors_17_2_13_wgs_238_tpt_34_halfLds_dp_op_CI_CI_unitstride_sbrr_dirReg
                                        ; -- End function
	.section	.AMDGPU.csdata,"",@progbits
; Kernel info:
; codeLenInByte = 11996
; NumSgprs: 60
; NumVgprs: 251
; ScratchSize: 0
; MemoryBound: 1
; FloatMode: 240
; IeeeMode: 1
; LDSByteSize: 0 bytes/workgroup (compile time only)
; SGPRBlocks: 7
; VGPRBlocks: 31
; NumSGPRsForWavesPerEU: 60
; NumVGPRsForWavesPerEU: 251
; Occupancy: 5
; WaveLimiterHint : 1
; COMPUTE_PGM_RSRC2:SCRATCH_EN: 0
; COMPUTE_PGM_RSRC2:USER_SGPR: 2
; COMPUTE_PGM_RSRC2:TRAP_HANDLER: 0
; COMPUTE_PGM_RSRC2:TGID_X_EN: 1
; COMPUTE_PGM_RSRC2:TGID_Y_EN: 0
; COMPUTE_PGM_RSRC2:TGID_Z_EN: 0
; COMPUTE_PGM_RSRC2:TIDIG_COMP_CNT: 0
	.text
	.p2alignl 7, 3214868480
	.fill 96, 4, 3214868480
	.type	__hip_cuid_c12ef79314c22b90,@object ; @__hip_cuid_c12ef79314c22b90
	.section	.bss,"aw",@nobits
	.globl	__hip_cuid_c12ef79314c22b90
__hip_cuid_c12ef79314c22b90:
	.byte	0                               ; 0x0
	.size	__hip_cuid_c12ef79314c22b90, 1

	.ident	"AMD clang version 19.0.0git (https://github.com/RadeonOpenCompute/llvm-project roc-6.4.0 25133 c7fe45cf4b819c5991fe208aaa96edf142730f1d)"
	.section	".note.GNU-stack","",@progbits
	.addrsig
	.addrsig_sym __hip_cuid_c12ef79314c22b90
	.amdgpu_metadata
---
amdhsa.kernels:
  - .args:
      - .actual_access:  read_only
        .address_space:  global
        .offset:         0
        .size:           8
        .value_kind:     global_buffer
      - .offset:         8
        .size:           8
        .value_kind:     by_value
      - .actual_access:  read_only
        .address_space:  global
        .offset:         16
        .size:           8
        .value_kind:     global_buffer
      - .actual_access:  read_only
        .address_space:  global
        .offset:         24
        .size:           8
        .value_kind:     global_buffer
      - .actual_access:  read_only
        .address_space:  global
        .offset:         32
        .size:           8
        .value_kind:     global_buffer
      - .offset:         40
        .size:           8
        .value_kind:     by_value
      - .actual_access:  read_only
        .address_space:  global
        .offset:         48
        .size:           8
        .value_kind:     global_buffer
      - .actual_access:  read_only
        .address_space:  global
        .offset:         56
        .size:           8
        .value_kind:     global_buffer
      - .offset:         64
        .size:           4
        .value_kind:     by_value
      - .actual_access:  read_only
        .address_space:  global
        .offset:         72
        .size:           8
        .value_kind:     global_buffer
      - .actual_access:  read_only
        .address_space:  global
        .offset:         80
        .size:           8
        .value_kind:     global_buffer
      - .actual_access:  read_only
        .address_space:  global
        .offset:         88
        .size:           8
        .value_kind:     global_buffer
      - .actual_access:  write_only
        .address_space:  global
        .offset:         96
        .size:           8
        .value_kind:     global_buffer
    .group_segment_fixed_size: 0
    .kernarg_segment_align: 8
    .kernarg_segment_size: 104
    .language:       OpenCL C
    .language_version:
      - 2
      - 0
    .max_flat_workgroup_size: 238
    .name:           fft_rtc_fwd_len442_factors_17_2_13_wgs_238_tpt_34_halfLds_dp_op_CI_CI_unitstride_sbrr_dirReg
    .private_segment_fixed_size: 0
    .sgpr_count:     60
    .sgpr_spill_count: 0
    .symbol:         fft_rtc_fwd_len442_factors_17_2_13_wgs_238_tpt_34_halfLds_dp_op_CI_CI_unitstride_sbrr_dirReg.kd
    .uniform_work_group_size: 1
    .uses_dynamic_stack: false
    .vgpr_count:     251
    .vgpr_spill_count: 0
    .wavefront_size: 32
    .workgroup_processor_mode: 1
amdhsa.target:   amdgcn-amd-amdhsa--gfx1201
amdhsa.version:
  - 1
  - 2
...

	.end_amdgpu_metadata
